;; amdgpu-corpus repo=ROCm/rocSOLVER kind=compiled arch=gfx1100 opt=O3
	.text
	.amdgcn_target "amdgcn-amd-amdhsa--gfx1100"
	.amdhsa_code_object_version 6
	.section	.text._ZN9rocsolver6v33100L10reset_infoIiiiEEvPT_T0_T1_S4_,"axG",@progbits,_ZN9rocsolver6v33100L10reset_infoIiiiEEvPT_T0_T1_S4_,comdat
	.globl	_ZN9rocsolver6v33100L10reset_infoIiiiEEvPT_T0_T1_S4_ ; -- Begin function _ZN9rocsolver6v33100L10reset_infoIiiiEEvPT_T0_T1_S4_
	.p2align	8
	.type	_ZN9rocsolver6v33100L10reset_infoIiiiEEvPT_T0_T1_S4_,@function
_ZN9rocsolver6v33100L10reset_infoIiiiEEvPT_T0_T1_S4_: ; @_ZN9rocsolver6v33100L10reset_infoIiiiEEvPT_T0_T1_S4_
; %bb.0:
	s_clause 0x1
	s_load_b32 s2, s[0:1], 0x24
	s_load_b128 s[4:7], s[0:1], 0x8
	s_waitcnt lgkmcnt(0)
	s_and_b32 s2, s2, 0xffff
	s_delay_alu instid0(SALU_CYCLE_1) | instskip(SKIP_1) | instid1(VALU_DEP_1)
	v_mad_u64_u32 v[1:2], null, s15, s2, v[0:1]
	s_mov_b32 s2, exec_lo
	v_cmpx_gt_i32_e64 s4, v1
	s_cbranch_execz .LBB0_2
; %bb.1:
	s_load_b64 s[0:1], s[0:1], 0x0
	v_ashrrev_i32_e32 v2, 31, v1
	s_mov_b32 s2, s5
	s_delay_alu instid0(SALU_CYCLE_1) | instskip(NEXT) | instid1(VALU_DEP_2)
	v_mad_u64_u32 v[4:5], null, v1, s6, s[2:3]
	v_lshlrev_b64 v[2:3], 2, v[1:2]
	s_waitcnt lgkmcnt(0)
	s_delay_alu instid0(VALU_DEP_1) | instskip(NEXT) | instid1(VALU_DEP_2)
	v_add_co_u32 v0, vcc_lo, s0, v2
	v_add_co_ci_u32_e32 v1, vcc_lo, s1, v3, vcc_lo
	global_store_b32 v[0:1], v4, off
.LBB0_2:
	s_nop 0
	s_sendmsg sendmsg(MSG_DEALLOC_VGPRS)
	s_endpgm
	.section	.rodata,"a",@progbits
	.p2align	6, 0x0
	.amdhsa_kernel _ZN9rocsolver6v33100L10reset_infoIiiiEEvPT_T0_T1_S4_
		.amdhsa_group_segment_fixed_size 0
		.amdhsa_private_segment_fixed_size 0
		.amdhsa_kernarg_size 280
		.amdhsa_user_sgpr_count 15
		.amdhsa_user_sgpr_dispatch_ptr 0
		.amdhsa_user_sgpr_queue_ptr 0
		.amdhsa_user_sgpr_kernarg_segment_ptr 1
		.amdhsa_user_sgpr_dispatch_id 0
		.amdhsa_user_sgpr_private_segment_size 0
		.amdhsa_wavefront_size32 1
		.amdhsa_uses_dynamic_stack 0
		.amdhsa_enable_private_segment 0
		.amdhsa_system_sgpr_workgroup_id_x 1
		.amdhsa_system_sgpr_workgroup_id_y 0
		.amdhsa_system_sgpr_workgroup_id_z 0
		.amdhsa_system_sgpr_workgroup_info 0
		.amdhsa_system_vgpr_workitem_id 0
		.amdhsa_next_free_vgpr 6
		.amdhsa_next_free_sgpr 16
		.amdhsa_reserve_vcc 1
		.amdhsa_float_round_mode_32 0
		.amdhsa_float_round_mode_16_64 0
		.amdhsa_float_denorm_mode_32 3
		.amdhsa_float_denorm_mode_16_64 3
		.amdhsa_dx10_clamp 1
		.amdhsa_ieee_mode 1
		.amdhsa_fp16_overflow 0
		.amdhsa_workgroup_processor_mode 1
		.amdhsa_memory_ordered 1
		.amdhsa_forward_progress 0
		.amdhsa_shared_vgpr_count 0
		.amdhsa_exception_fp_ieee_invalid_op 0
		.amdhsa_exception_fp_denorm_src 0
		.amdhsa_exception_fp_ieee_div_zero 0
		.amdhsa_exception_fp_ieee_overflow 0
		.amdhsa_exception_fp_ieee_underflow 0
		.amdhsa_exception_fp_ieee_inexact 0
		.amdhsa_exception_int_div_zero 0
	.end_amdhsa_kernel
	.section	.text._ZN9rocsolver6v33100L10reset_infoIiiiEEvPT_T0_T1_S4_,"axG",@progbits,_ZN9rocsolver6v33100L10reset_infoIiiiEEvPT_T0_T1_S4_,comdat
.Lfunc_end0:
	.size	_ZN9rocsolver6v33100L10reset_infoIiiiEEvPT_T0_T1_S4_, .Lfunc_end0-_ZN9rocsolver6v33100L10reset_infoIiiiEEvPT_T0_T1_S4_
                                        ; -- End function
	.section	.AMDGPU.csdata,"",@progbits
; Kernel info:
; codeLenInByte = 136
; NumSgprs: 18
; NumVgprs: 6
; ScratchSize: 0
; MemoryBound: 0
; FloatMode: 240
; IeeeMode: 1
; LDSByteSize: 0 bytes/workgroup (compile time only)
; SGPRBlocks: 2
; VGPRBlocks: 0
; NumSGPRsForWavesPerEU: 18
; NumVGPRsForWavesPerEU: 6
; Occupancy: 16
; WaveLimiterHint : 0
; COMPUTE_PGM_RSRC2:SCRATCH_EN: 0
; COMPUTE_PGM_RSRC2:USER_SGPR: 15
; COMPUTE_PGM_RSRC2:TRAP_HANDLER: 0
; COMPUTE_PGM_RSRC2:TGID_X_EN: 1
; COMPUTE_PGM_RSRC2:TGID_Y_EN: 0
; COMPUTE_PGM_RSRC2:TGID_Z_EN: 0
; COMPUTE_PGM_RSRC2:TIDIG_COMP_CNT: 0
	.section	.text._ZN9rocsolver6v33100L18lasyf_kernel_upperIfPfEEviiPiT0_iilS3_lS3_PT_,"axG",@progbits,_ZN9rocsolver6v33100L18lasyf_kernel_upperIfPfEEviiPiT0_iilS3_lS3_PT_,comdat
	.globl	_ZN9rocsolver6v33100L18lasyf_kernel_upperIfPfEEviiPiT0_iilS3_lS3_PT_ ; -- Begin function _ZN9rocsolver6v33100L18lasyf_kernel_upperIfPfEEviiPiT0_iilS3_lS3_PT_
	.p2align	8
	.type	_ZN9rocsolver6v33100L18lasyf_kernel_upperIfPfEEviiPiT0_iilS3_lS3_PT_,@function
_ZN9rocsolver6v33100L18lasyf_kernel_upperIfPfEEviiPiT0_iilS3_lS3_PT_: ; @_ZN9rocsolver6v33100L18lasyf_kernel_upperIfPfEEviiPiT0_iilS3_lS3_PT_
; %bb.0:
	v_cmp_eq_u32_e64 s2, 0, v0
	s_mov_b32 s26, s15
	s_delay_alu instid0(VALU_DEP_1)
	s_and_saveexec_b32 s3, s2
	s_cbranch_execz .LBB1_2
; %bb.1:
	v_mov_b32_e32 v1, 0
	ds_store_b32 v1, v1 offset:2052
.LBB1_2:
	s_or_b32 exec_lo, exec_lo, s3
	s_clause 0x4
	s_load_b64 s[16:17], s[0:1], 0x18
	s_load_b256 s[4:11], s[0:1], 0x20
	s_load_b64 s[18:19], s[0:1], 0x0
	s_load_b128 s[12:15], s[0:1], 0x8
	s_load_b64 s[20:21], s[0:1], 0x40
	s_ashr_i32 s27, s26, 31
	v_lshlrev_b32_e32 v12, 2, v0
	v_add_nc_u32_e32 v11, 1, v0
	s_waitcnt lgkmcnt(0)
	s_ashr_i32 s1, s16, 31
	s_mul_i32 s3, s26, s5
	s_mul_hi_u32 s5, s26, s4
	s_mov_b32 s0, s16
	s_mul_i32 s16, s27, s4
	s_add_i32 s3, s5, s3
	s_mul_i32 s4, s26, s4
	s_add_i32 s5, s3, s16
	s_mul_i32 s3, s26, s18
	s_lshl_b64 s[22:23], s[4:5], 2
	s_mul_i32 s4, s26, s9
	s_add_u32 s5, s14, s22
	s_addc_u32 s9, s15, s23
	s_lshl_b64 s[24:25], s[0:1], 2
	s_mul_i32 s0, s3, s19
	s_add_u32 s16, s5, s24
	s_addc_u32 s33, s9, s25
	s_ashr_i32 s1, s0, 31
	s_mul_hi_u32 s3, s26, s8
	s_lshl_b64 s[28:29], s[0:1], 2
	s_mul_i32 s1, s27, s8
	s_add_u32 s43, s20, s28
	s_addc_u32 s44, s21, s29
	s_add_i32 s3, s3, s4
	s_mul_i32 s0, s26, s8
	s_add_i32 s1, s3, s1
	s_delay_alu instid0(SALU_CYCLE_1) | instskip(NEXT) | instid1(SALU_CYCLE_1)
	s_lshl_b64 s[0:1], s[0:1], 2
	s_add_u32 s40, s6, s0
	s_addc_u32 s41, s7, s1
	s_add_i32 s42, s18, -1
	s_mov_b32 s0, s19
	s_cmp_lt_i32 s42, 0
	s_mov_b32 s8, s42
	s_cbranch_scc1 .LBB1_219
; %bb.3:
	s_sub_i32 s45, s19, s18
	s_add_i32 s64, s19, -1
	s_sub_i32 s46, s18, s19
	s_cmp_eq_u32 s19, s18
	v_dual_mov_b32 v2, 0 :: v_dual_add_nc_u32 v1, s19, v0
	s_cselect_b32 s6, -1, 0
	s_add_i32 s47, s17, 1
	s_lshl_b32 s48, s18, 1
	s_add_u32 s49, s16, 4
	s_addc_u32 s50, s33, 0
	s_add_u32 s51, s43, 4
	s_addc_u32 s52, s44, 0
	s_add_u32 s53, s43, -4
	s_addc_u32 s54, s44, -1
	s_add_u32 s55, s16, -4
	s_addc_u32 s56, s33, -1
	s_add_u32 s57, s20, s28
	s_addc_u32 s58, s21, s29
	s_add_u32 s3, s22, s24
	s_addc_u32 s4, s23, s25
	;; [unrolled: 2-line block ×3, first 2 shown]
	s_ashr_i32 s5, s18, 31
	s_mov_b32 s4, s18
	v_subrev_nc_u32_e32 v1, s18, v1
	s_lshl_b64 s[30:31], s[4:5], 2
	s_ashr_i32 s5, s17, 31
	s_mov_b32 s4, s17
	v_add_co_u32 v14, s7, s59, v12
	s_lshl_b64 s[34:35], s[4:5], 2
	v_add_co_u32 v16, s4, s57, v12
	s_delay_alu instid0(VALU_DEP_1) | instskip(SKIP_1) | instid1(VALU_DEP_3)
	v_add_co_ci_u32_e64 v17, null, s58, 0, s4
	v_or_b32_e32 v13, 0x400, v12
	v_add_co_u32 v18, vcc_lo, v16, 4
	v_cmp_gt_u32_e64 s0, 0x80, v0
	v_cmp_gt_u32_e64 s1, 64, v0
	;; [unrolled: 1-line block ×3, first 2 shown]
	v_add_co_ci_u32_e64 v15, null, s60, 0, s7
	v_add_co_ci_u32_e32 v19, vcc_lo, 0, v17, vcc_lo
	v_add_nc_u32_e32 v20, 1, v1
	s_lshl_b32 s61, s17, 8
	s_lshl_b32 s62, s18, 8
	s_mov_b32 s9, 0
	s_xor_b32 s63, s6, -1
	s_mov_b32 s8, s42
	s_branch .LBB1_6
.LBB1_4:                                ;   in Loop: Header=BB1_6 Depth=1
	s_or_b32 exec_lo, exec_lo, s36
	s_add_i32 s8, s7, s8
	s_delay_alu instid0(SALU_CYCLE_1)
	s_add_i32 s64, s8, s45
	s_cmp_lt_i32 s8, 0
	s_cselect_b32 s4, -1, 0
.LBB1_5:                                ;   in Loop: Header=BB1_6 Depth=1
	s_delay_alu instid0(SALU_CYCLE_1)
	s_and_b32 vcc_lo, exec_lo, s4
	s_cbranch_vccnz .LBB1_218
.LBB1_6:                                ; =>This Loop Header: Depth=1
                                        ;     Child Loop BB1_9 Depth 2
                                        ;     Child Loop BB1_16 Depth 2
                                        ;       Child Loop BB1_18 Depth 3
                                        ;     Child Loop BB1_22 Depth 2
                                        ;     Child Loop BB1_67 Depth 2
	;; [unrolled: 1-line block ×4, first 2 shown]
                                        ;       Child Loop BB1_79 Depth 3
                                        ;     Child Loop BB1_84 Depth 2
                                        ;     Child Loop BB1_128 Depth 2
	;; [unrolled: 1-line block ×9, first 2 shown]
	s_cmp_le_i32 s8, s46
	s_cselect_b32 s4, -1, 0
	s_delay_alu instid0(SALU_CYCLE_1) | instskip(NEXT) | instid1(SALU_CYCLE_1)
	s_and_b32 s4, s63, s4
	s_and_b32 vcc_lo, exec_lo, s4
	s_mov_b32 s4, -1
	s_cbranch_vccnz .LBB1_5
; %bb.7:                                ;   in Loop: Header=BB1_6 Depth=1
	v_cmp_ge_i32_e64 s5, s8, v0
	s_delay_alu instid0(VALU_DEP_1)
	s_and_saveexec_b32 s6, s5
	s_cbranch_execz .LBB1_10
; %bb.8:                                ;   in Loop: Header=BB1_6 Depth=1
	v_mad_u64_u32 v[3:4], null, s64, s18, v[0:1]
	v_mad_u64_u32 v[5:6], null, s8, s17, v[0:1]
	v_mov_b32_e32 v1, v0
	s_mov_b32 s7, 0
	s_delay_alu instid0(VALU_DEP_3) | instskip(NEXT) | instid1(VALU_DEP_3)
	v_ashrrev_i32_e32 v4, 31, v3
	v_ashrrev_i32_e32 v6, 31, v5
	s_delay_alu instid0(VALU_DEP_2) | instskip(NEXT) | instid1(VALU_DEP_2)
	v_lshlrev_b64 v[3:4], 2, v[3:4]
	v_lshlrev_b64 v[5:6], 2, v[5:6]
	s_delay_alu instid0(VALU_DEP_2) | instskip(NEXT) | instid1(VALU_DEP_3)
	v_add_co_u32 v3, vcc_lo, s57, v3
	v_add_co_ci_u32_e32 v4, vcc_lo, s58, v4, vcc_lo
	s_delay_alu instid0(VALU_DEP_3) | instskip(NEXT) | instid1(VALU_DEP_4)
	v_add_co_u32 v5, vcc_lo, s59, v5
	v_add_co_ci_u32_e32 v6, vcc_lo, s60, v6, vcc_lo
	.p2align	6
.LBB1_9:                                ;   Parent Loop BB1_6 Depth=1
                                        ; =>  This Inner Loop Header: Depth=2
	global_load_b32 v7, v[5:6], off
	v_add_nc_u32_e32 v1, 0x100, v1
	v_add_co_u32 v5, vcc_lo, 0x400, v5
	v_add_co_ci_u32_e32 v6, vcc_lo, 0, v6, vcc_lo
	s_delay_alu instid0(VALU_DEP_3) | instskip(SKIP_4) | instid1(VALU_DEP_1)
	v_cmp_lt_i32_e32 vcc_lo, s8, v1
	s_or_b32 s7, vcc_lo, s7
	s_waitcnt vmcnt(0)
	global_store_b32 v[3:4], v7, off
	v_add_co_u32 v3, s4, 0x400, v3
	v_add_co_ci_u32_e64 v4, s4, 0, v4, s4
	s_and_not1_b32 exec_lo, exec_lo, s7
	s_cbranch_execnz .LBB1_9
.LBB1_10:                               ;   in Loop: Header=BB1_6 Depth=1
	s_or_b32 exec_lo, exec_lo, s6
	s_cmp_ge_i32 s8, s42
	s_mov_b32 s4, -1
	s_cselect_b32 s65, -1, 0
	s_cmp_lt_i32 s8, s42
	s_waitcnt_vscnt null, 0x0
	s_waitcnt lgkmcnt(0)
	s_barrier
	buffer_gl0_inv
                                        ; implicit-def: $sgpr36
	s_cbranch_scc1 .LBB1_12
; %bb.11:                               ;   in Loop: Header=BB1_6 Depth=1
	s_mul_i32 s36, s64, s18
	s_mov_b32 s4, 0
	s_ashr_i32 s37, s36, 31
.LBB1_12:                               ;   in Loop: Header=BB1_6 Depth=1
	s_and_not1_b32 vcc_lo, exec_lo, s4
	s_cbranch_vccnz .LBB1_20
; %bb.13:                               ;   in Loop: Header=BB1_6 Depth=1
	s_mul_i32 s36, s64, s18
	s_delay_alu instid0(SALU_CYCLE_1)
	s_ashr_i32 s37, s36, 31
	s_and_saveexec_b32 s66, s5
	s_cbranch_execz .LBB1_19
; %bb.14:                               ;   in Loop: Header=BB1_6 Depth=1
	s_add_i32 s4, s8, 1
	s_not_b32 s67, s8
	s_mul_i32 s38, s4, s17
	s_lshl_b64 s[6:7], s[8:9], 2
	s_add_i32 s67, s67, s18
	s_ashr_i32 s39, s38, 31
	s_add_u32 s4, s43, s6
	s_addc_u32 s68, s44, s7
	s_add_i32 s6, s64, 1
	v_mov_b32_e32 v1, v0
	s_mul_i32 s6, s6, s18
	s_mov_b32 s71, 0
	s_ashr_i32 s7, s6, 31
	s_delay_alu instid0(SALU_CYCLE_1) | instskip(NEXT) | instid1(SALU_CYCLE_1)
	s_lshl_b64 s[6:7], s[6:7], 2
	s_add_u32 s6, s4, s6
	s_addc_u32 s7, s68, s7
	s_lshl_b64 s[68:69], s[36:37], 2
	s_delay_alu instid0(SALU_CYCLE_1) | instskip(SKIP_4) | instid1(SALU_CYCLE_1)
	s_add_u32 s68, s43, s68
	s_addc_u32 s69, s44, s69
	s_cmp_gt_i32 s67, 0
	s_cselect_b32 s70, -1, 0
	s_lshl_b64 s[38:39], s[38:39], 2
	v_add_co_u32 v3, vcc_lo, v14, s38
	v_add_co_ci_u32_e32 v4, vcc_lo, s39, v15, vcc_lo
	s_set_inst_prefetch_distance 0x1
	s_branch .LBB1_16
	.p2align	6
.LBB1_15:                               ;   in Loop: Header=BB1_16 Depth=2
	v_lshlrev_b64 v[5:6], 2, v[1:2]
	v_add_nc_u32_e32 v1, 0x100, v1
	v_add_co_u32 v3, s4, 0x400, v3
	s_delay_alu instid0(VALU_DEP_1) | instskip(NEXT) | instid1(VALU_DEP_4)
	v_add_co_ci_u32_e64 v4, s4, 0, v4, s4
	v_add_co_u32 v5, vcc_lo, s68, v5
	v_add_co_ci_u32_e32 v6, vcc_lo, s69, v6, vcc_lo
	v_cmp_lt_i32_e32 vcc_lo, s8, v1
	global_load_b32 v8, v[5:6], off
	s_or_b32 s71, vcc_lo, s71
	s_waitcnt vmcnt(0)
	v_sub_f32_e32 v7, v8, v7
	global_store_b32 v[5:6], v7, off
	s_and_not1_b32 exec_lo, exec_lo, s71
	s_cbranch_execz .LBB1_19
.LBB1_16:                               ;   Parent Loop BB1_6 Depth=1
                                        ; =>  This Loop Header: Depth=2
                                        ;       Child Loop BB1_18 Depth 3
	v_mov_b32_e32 v7, 0
	s_and_not1_b32 vcc_lo, exec_lo, s70
	s_cbranch_vccnz .LBB1_15
; %bb.17:                               ;   in Loop: Header=BB1_16 Depth=2
	v_dual_mov_b32 v6, v4 :: v_dual_mov_b32 v5, v3
	s_mov_b64 s[38:39], s[6:7]
	s_mov_b32 s4, s67
.LBB1_18:                               ;   Parent Loop BB1_6 Depth=1
                                        ;     Parent Loop BB1_16 Depth=2
                                        ; =>    This Inner Loop Header: Depth=3
	global_load_b32 v8, v[5:6], off
	global_load_b32 v9, v2, s[38:39]
	v_add_co_u32 v5, vcc_lo, v5, s34
	s_add_i32 s4, s4, -1
	v_add_co_ci_u32_e32 v6, vcc_lo, s35, v6, vcc_lo
	s_add_u32 s38, s38, s30
	s_addc_u32 s39, s39, s31
	s_cmp_eq_u32 s4, 0
	s_waitcnt vmcnt(0)
	v_fmac_f32_e32 v7, v8, v9
	s_cbranch_scc0 .LBB1_18
	s_branch .LBB1_15
.LBB1_19:                               ;   in Loop: Header=BB1_6 Depth=1
	s_set_inst_prefetch_distance 0x2
	s_or_b32 exec_lo, exec_lo, s66
	s_waitcnt_vscnt null, 0x0
	s_barrier
	buffer_gl0_inv
.LBB1_20:                               ;   in Loop: Header=BB1_6 Depth=1
	v_cmp_gt_i32_e64 s4, s8, v0
	v_bfrev_b32_e32 v5, -2
	v_mov_b32_e32 v1, 0
	s_delay_alu instid0(VALU_DEP_3)
	s_and_saveexec_b32 s7, s4
	s_cbranch_execz .LBB1_24
; %bb.21:                               ;   in Loop: Header=BB1_6 Depth=1
	s_lshl_b64 s[38:39], s[36:37], 2
	v_bfrev_b32_e32 v5, -2
	v_add_co_u32 v3, vcc_lo, v16, s38
	v_add_co_ci_u32_e32 v4, vcc_lo, s39, v17, vcc_lo
	v_dual_mov_b32 v1, 0 :: v_dual_mov_b32 v6, v0
	s_mov_b32 s37, 0
	.p2align	6
.LBB1_22:                               ;   Parent Loop BB1_6 Depth=1
                                        ; =>  This Inner Loop Header: Depth=2
	global_load_b32 v7, v[3:4], off
	v_cmp_eq_u32_e32 vcc_lo, 0x7fffffff, v5
	v_add_nc_u32_e32 v8, 1, v6
	v_add_co_u32 v3, s6, 0x400, v3
	s_delay_alu instid0(VALU_DEP_1) | instskip(SKIP_2) | instid1(VALU_DEP_1)
	v_add_co_ci_u32_e64 v4, s6, 0, v4, s6
	s_waitcnt vmcnt(0)
	v_cmp_lt_f32_e64 s38, v1, |v7|
	s_or_b32 vcc_lo, s38, vcc_lo
	v_dual_cndmask_b32 v5, v5, v8 :: v_dual_add_nc_u32 v6, 0x100, v6
	v_cndmask_b32_e64 v1, v1, |v7|, vcc_lo
	s_delay_alu instid0(VALU_DEP_2) | instskip(NEXT) | instid1(VALU_DEP_1)
	v_cmp_le_i32_e64 s6, s8, v6
	s_or_b32 s37, s6, s37
	s_delay_alu instid0(SALU_CYCLE_1)
	s_and_not1_b32 exec_lo, exec_lo, s37
	s_cbranch_execnz .LBB1_22
; %bb.23:                               ;   in Loop: Header=BB1_6 Depth=1
	s_or_b32 exec_lo, exec_lo, s37
.LBB1_24:                               ;   in Loop: Header=BB1_6 Depth=1
	s_delay_alu instid0(SALU_CYCLE_1)
	s_or_b32 exec_lo, exec_lo, s7
	s_cmp_lt_i32 s8, 2
	ds_store_b32 v13, v1
	ds_store_b32 v12, v5
	s_waitcnt lgkmcnt(0)
	s_barrier
	buffer_gl0_inv
	s_cbranch_scc1 .LBB1_61
; %bb.25:                               ;   in Loop: Header=BB1_6 Depth=1
	s_and_saveexec_b32 s7, s0
	s_cbranch_execz .LBB1_31
; %bb.26:                               ;   in Loop: Header=BB1_6 Depth=1
	ds_load_b32 v3, v13 offset:512
	ds_load_b32 v4, v12 offset:512
	s_mov_b32 s38, exec_lo
	s_waitcnt lgkmcnt(1)
	v_cmp_lt_f32_e64 s37, v1, v3
	v_cmpx_nlt_f32_e32 v1, v3
	s_cbranch_execz .LBB1_28
; %bb.27:                               ;   in Loop: Header=BB1_6 Depth=1
	v_cmp_eq_f32_e32 vcc_lo, v1, v3
	s_waitcnt lgkmcnt(0)
	v_cmp_gt_i32_e64 s6, v5, v4
	s_and_not1_b32 s37, s37, exec_lo
	s_delay_alu instid0(VALU_DEP_1) | instskip(NEXT) | instid1(SALU_CYCLE_1)
	s_and_b32 s6, vcc_lo, s6
	s_and_b32 s6, s6, exec_lo
	s_delay_alu instid0(SALU_CYCLE_1)
	s_or_b32 s37, s37, s6
.LBB1_28:                               ;   in Loop: Header=BB1_6 Depth=1
	s_or_b32 exec_lo, exec_lo, s38
	s_delay_alu instid0(VALU_DEP_2)
	s_and_saveexec_b32 s6, s37
	s_cbranch_execz .LBB1_30
; %bb.29:                               ;   in Loop: Header=BB1_6 Depth=1
	s_waitcnt lgkmcnt(0)
	v_mov_b32_e32 v5, v4
	v_mov_b32_e32 v1, v3
	ds_store_b32 v13, v3
	ds_store_b32 v12, v4
.LBB1_30:                               ;   in Loop: Header=BB1_6 Depth=1
	s_or_b32 exec_lo, exec_lo, s6
.LBB1_31:                               ;   in Loop: Header=BB1_6 Depth=1
	s_delay_alu instid0(SALU_CYCLE_1)
	s_or_b32 exec_lo, exec_lo, s7
	s_waitcnt lgkmcnt(0)
	s_barrier
	buffer_gl0_inv
	s_and_saveexec_b32 s7, s1
	s_cbranch_execz .LBB1_37
; %bb.32:                               ;   in Loop: Header=BB1_6 Depth=1
	ds_load_b32 v3, v13 offset:256
	ds_load_b32 v4, v12 offset:256
	s_mov_b32 s38, exec_lo
	s_waitcnt lgkmcnt(1)
	v_cmp_lt_f32_e64 s37, v1, v3
	v_cmpx_nlt_f32_e32 v1, v3
	s_cbranch_execz .LBB1_34
; %bb.33:                               ;   in Loop: Header=BB1_6 Depth=1
	v_cmp_eq_f32_e32 vcc_lo, v1, v3
	s_waitcnt lgkmcnt(0)
	v_cmp_gt_i32_e64 s6, v5, v4
	s_and_not1_b32 s37, s37, exec_lo
	s_delay_alu instid0(VALU_DEP_1) | instskip(NEXT) | instid1(SALU_CYCLE_1)
	s_and_b32 s6, vcc_lo, s6
	s_and_b32 s6, s6, exec_lo
	s_delay_alu instid0(SALU_CYCLE_1)
	s_or_b32 s37, s37, s6
.LBB1_34:                               ;   in Loop: Header=BB1_6 Depth=1
	s_or_b32 exec_lo, exec_lo, s38
	s_delay_alu instid0(VALU_DEP_2)
	s_and_saveexec_b32 s6, s37
	s_cbranch_execz .LBB1_36
; %bb.35:                               ;   in Loop: Header=BB1_6 Depth=1
	s_waitcnt lgkmcnt(0)
	v_mov_b32_e32 v5, v4
	v_mov_b32_e32 v1, v3
	ds_store_b32 v13, v3
	ds_store_b32 v12, v4
.LBB1_36:                               ;   in Loop: Header=BB1_6 Depth=1
	s_or_b32 exec_lo, exec_lo, s6
.LBB1_37:                               ;   in Loop: Header=BB1_6 Depth=1
	s_delay_alu instid0(SALU_CYCLE_1)
	s_or_b32 exec_lo, exec_lo, s7
	s_waitcnt lgkmcnt(0)
	s_barrier
	buffer_gl0_inv
	s_and_saveexec_b32 s37, s3
	s_cbranch_execz .LBB1_60
; %bb.38:                               ;   in Loop: Header=BB1_6 Depth=1
	ds_load_b32 v3, v13 offset:128
	ds_load_b32 v4, v12 offset:128
	s_mov_b32 s38, exec_lo
	s_waitcnt lgkmcnt(1)
	v_cmp_lt_f32_e64 s7, v1, v3
	v_cmpx_nlt_f32_e32 v1, v3
	s_cbranch_execz .LBB1_40
; %bb.39:                               ;   in Loop: Header=BB1_6 Depth=1
	v_cmp_eq_f32_e32 vcc_lo, v1, v3
	s_waitcnt lgkmcnt(0)
	v_cmp_gt_i32_e64 s6, v5, v4
	s_and_not1_b32 s7, s7, exec_lo
	s_delay_alu instid0(VALU_DEP_1) | instskip(NEXT) | instid1(SALU_CYCLE_1)
	s_and_b32 s6, vcc_lo, s6
	s_and_b32 s6, s6, exec_lo
	s_delay_alu instid0(SALU_CYCLE_1)
	s_or_b32 s7, s7, s6
.LBB1_40:                               ;   in Loop: Header=BB1_6 Depth=1
	s_or_b32 exec_lo, exec_lo, s38
	s_delay_alu instid0(VALU_DEP_2)
	s_and_saveexec_b32 s6, s7
	s_cbranch_execz .LBB1_42
; %bb.41:                               ;   in Loop: Header=BB1_6 Depth=1
	v_mov_b32_e32 v1, v3
	s_waitcnt lgkmcnt(0)
	v_mov_b32_e32 v5, v4
	ds_store_b32 v13, v3
	ds_store_b32 v12, v4
.LBB1_42:                               ;   in Loop: Header=BB1_6 Depth=1
	s_or_b32 exec_lo, exec_lo, s6
	ds_load_b32 v3, v13 offset:64
	s_waitcnt lgkmcnt(1)
	ds_load_b32 v4, v12 offset:64
	s_mov_b32 s38, exec_lo
	s_waitcnt lgkmcnt(1)
	v_cmp_lt_f32_e64 s7, v1, v3
	v_cmpx_nlt_f32_e32 v1, v3
	s_cbranch_execz .LBB1_44
; %bb.43:                               ;   in Loop: Header=BB1_6 Depth=1
	v_cmp_eq_f32_e32 vcc_lo, v1, v3
	s_waitcnt lgkmcnt(0)
	v_cmp_gt_i32_e64 s6, v5, v4
	s_and_not1_b32 s7, s7, exec_lo
	s_delay_alu instid0(VALU_DEP_1) | instskip(NEXT) | instid1(SALU_CYCLE_1)
	s_and_b32 s6, vcc_lo, s6
	s_and_b32 s6, s6, exec_lo
	s_delay_alu instid0(SALU_CYCLE_1)
	s_or_b32 s7, s7, s6
.LBB1_44:                               ;   in Loop: Header=BB1_6 Depth=1
	s_or_b32 exec_lo, exec_lo, s38
	s_delay_alu instid0(VALU_DEP_2)
	s_and_saveexec_b32 s6, s7
	s_cbranch_execz .LBB1_46
; %bb.45:                               ;   in Loop: Header=BB1_6 Depth=1
	v_mov_b32_e32 v1, v3
	s_waitcnt lgkmcnt(0)
	v_mov_b32_e32 v5, v4
	ds_store_b32 v13, v3
	ds_store_b32 v12, v4
.LBB1_46:                               ;   in Loop: Header=BB1_6 Depth=1
	s_or_b32 exec_lo, exec_lo, s6
	ds_load_b32 v3, v13 offset:32
	s_waitcnt lgkmcnt(1)
	;; [unrolled: 31-line block ×5, first 2 shown]
	ds_load_b32 v4, v12 offset:4
	s_waitcnt lgkmcnt(1)
	v_cmp_eq_f32_e32 vcc_lo, v1, v3
	s_waitcnt lgkmcnt(0)
	v_cmp_gt_i32_e64 s6, v5, v4
	v_cmp_lt_f32_e64 s7, v1, v3
	s_delay_alu instid0(VALU_DEP_2)
	s_and_b32 s6, vcc_lo, s6
	s_delay_alu instid0(VALU_DEP_1) | instid1(SALU_CYCLE_1)
	s_or_b32 s6, s7, s6
	s_delay_alu instid0(SALU_CYCLE_1)
	s_and_b32 exec_lo, exec_lo, s6
	s_cbranch_execz .LBB1_60
; %bb.59:                               ;   in Loop: Header=BB1_6 Depth=1
	ds_store_b32 v13, v3
	ds_store_b32 v12, v4
.LBB1_60:                               ;   in Loop: Header=BB1_6 Depth=1
	s_or_b32 exec_lo, exec_lo, s37
.LBB1_61:                               ;   in Loop: Header=BB1_6 Depth=1
	s_and_saveexec_b32 s6, s2
	s_cbranch_execz .LBB1_63
; %bb.62:                               ;   in Loop: Header=BB1_6 Depth=1
	s_add_i32 s38, s36, s8
	ds_load_2addr_stride64_b32 v[3:4], v2 offset1:4
	s_ashr_i32 s39, s38, 31
	s_delay_alu instid0(SALU_CYCLE_1) | instskip(NEXT) | instid1(SALU_CYCLE_1)
	s_lshl_b64 s[38:39], s[38:39], 2
	s_add_u32 s38, s43, s38
	s_addc_u32 s39, s44, s39
	global_load_b32 v1, v2, s[38:39]
	s_waitcnt lgkmcnt(0)
	v_add_nc_u32_e32 v5, -1, v3
	s_waitcnt vmcnt(0)
	v_and_b32_e32 v3, 0x7fffffff, v1
	ds_store_b32 v2, v5 offset:2048
	ds_store_b64 v2, v[3:4] offset:2056
.LBB1_63:                               ;   in Loop: Header=BB1_6 Depth=1
	s_or_b32 exec_lo, exec_lo, s6
	s_waitcnt lgkmcnt(0)
	s_barrier
	buffer_gl0_inv
	ds_load_b64 v[3:4], v2 offset:2056
	s_waitcnt lgkmcnt(0)
	v_cmp_lt_f32_e32 vcc_lo, v3, v4
	v_cndmask_b32_e32 v1, v3, v4, vcc_lo
	s_delay_alu instid0(VALU_DEP_1)
	v_cmp_neq_f32_e32 vcc_lo, 0, v1
	s_cbranch_vccz .LBB1_80
; %bb.64:                               ;   in Loop: Header=BB1_6 Depth=1
	v_mul_f32_e32 v1, 0x3f23f07b, v4
	s_delay_alu instid0(VALU_DEP_1)
	v_cmp_ge_f32_e32 vcc_lo, v3, v1
	s_cbranch_vccnz .LBB1_176
; %bb.65:                               ;   in Loop: Header=BB1_6 Depth=1
	ds_load_b32 v1, v2 offset:2048
	s_mov_b32 s7, exec_lo
	s_waitcnt lgkmcnt(0)
	v_cmpx_ge_i32_e64 v1, v0
	s_cbranch_execz .LBB1_68
; %bb.66:                               ;   in Loop: Header=BB1_6 Depth=1
	v_mad_u64_u32 v[3:4], null, v1, s17, v[0:1]
	s_add_i32 s6, s64, -1
	v_mov_b32_e32 v7, v0
	v_mad_u64_u32 v[5:6], null, s6, s18, v[0:1]
	s_mov_b32 s37, 0
	s_delay_alu instid0(VALU_DEP_3) | instskip(NEXT) | instid1(VALU_DEP_2)
	v_ashrrev_i32_e32 v4, 31, v3
	v_ashrrev_i32_e32 v6, 31, v5
	s_delay_alu instid0(VALU_DEP_2) | instskip(NEXT) | instid1(VALU_DEP_2)
	v_lshlrev_b64 v[3:4], 2, v[3:4]
	v_lshlrev_b64 v[5:6], 2, v[5:6]
	s_delay_alu instid0(VALU_DEP_2) | instskip(NEXT) | instid1(VALU_DEP_3)
	v_add_co_u32 v3, vcc_lo, s59, v3
	v_add_co_ci_u32_e32 v4, vcc_lo, s60, v4, vcc_lo
	s_delay_alu instid0(VALU_DEP_3) | instskip(NEXT) | instid1(VALU_DEP_4)
	v_add_co_u32 v5, vcc_lo, s57, v5
	v_add_co_ci_u32_e32 v6, vcc_lo, s58, v6, vcc_lo
	.p2align	6
.LBB1_67:                               ;   Parent Loop BB1_6 Depth=1
                                        ; =>  This Inner Loop Header: Depth=2
	global_load_b32 v8, v[3:4], off
	v_add_nc_u32_e32 v7, 0x100, v7
	v_add_co_u32 v3, vcc_lo, 0x400, v3
	v_add_co_ci_u32_e32 v4, vcc_lo, 0, v4, vcc_lo
	s_delay_alu instid0(VALU_DEP_3) | instskip(SKIP_4) | instid1(VALU_DEP_1)
	v_cmp_gt_i32_e32 vcc_lo, v7, v1
	s_or_b32 s37, vcc_lo, s37
	s_waitcnt vmcnt(0)
	global_store_b32 v[5:6], v8, off
	v_add_co_u32 v5, s6, 0x400, v5
	v_add_co_ci_u32_e64 v6, s6, 0, v6, s6
	s_and_not1_b32 exec_lo, exec_lo, s37
	s_cbranch_execnz .LBB1_67
.LBB1_68:                               ;   in Loop: Header=BB1_6 Depth=1
	s_or_b32 exec_lo, exec_lo, s7
	v_sub_nc_u32_e32 v5, s8, v1
	s_mov_b32 s7, exec_lo
	s_delay_alu instid0(VALU_DEP_1)
	v_cmpx_gt_i32_e64 v5, v0
	s_cbranch_execz .LBB1_71
; %bb.69:                               ;   in Loop: Header=BB1_6 Depth=1
	s_add_i32 s6, s64, -1
	v_add_nc_u32_e32 v6, v11, v1
	s_mul_i32 s6, s6, s18
	s_mov_b32 s37, 0
	v_add_nc_u32_e32 v7, s6, v1
	s_delay_alu instid0(VALU_DEP_2) | instskip(NEXT) | instid1(VALU_DEP_2)
	v_mad_u64_u32 v[3:4], null, s17, v6, v[1:2]
	v_dual_mov_b32 v6, v0 :: v_dual_add_nc_u32 v1, 1, v7
	.p2align	6
.LBB1_70:                               ;   Parent Loop BB1_6 Depth=1
                                        ; =>  This Inner Loop Header: Depth=2
	s_delay_alu instid0(VALU_DEP_2) | instskip(NEXT) | instid1(VALU_DEP_1)
	v_ashrrev_i32_e32 v4, 31, v3
	v_lshlrev_b64 v[7:8], 2, v[3:4]
	v_add_nc_u32_e32 v3, s61, v3
	s_delay_alu instid0(VALU_DEP_2) | instskip(NEXT) | instid1(VALU_DEP_3)
	v_add_co_u32 v7, vcc_lo, s16, v7
	v_add_co_ci_u32_e32 v8, vcc_lo, s33, v8, vcc_lo
	global_load_b32 v4, v[7:8], off
	v_add_nc_u32_e32 v7, v1, v6
	v_add_nc_u32_e32 v6, 0x100, v6
	s_delay_alu instid0(VALU_DEP_2) | instskip(NEXT) | instid1(VALU_DEP_2)
	v_ashrrev_i32_e32 v8, 31, v7
	v_cmp_ge_i32_e32 vcc_lo, v6, v5
	s_delay_alu instid0(VALU_DEP_2) | instskip(SKIP_1) | instid1(VALU_DEP_1)
	v_lshlrev_b64 v[7:8], 2, v[7:8]
	s_or_b32 s37, vcc_lo, s37
	v_add_co_u32 v7, s6, s43, v7
	s_delay_alu instid0(VALU_DEP_1)
	v_add_co_ci_u32_e64 v8, s6, s44, v8, s6
	s_waitcnt vmcnt(0)
	global_store_b32 v[7:8], v4, off
	s_and_not1_b32 exec_lo, exec_lo, s37
	s_cbranch_execnz .LBB1_70
.LBB1_71:                               ;   in Loop: Header=BB1_6 Depth=1
	s_or_b32 exec_lo, exec_lo, s7
	s_delay_alu instid0(SALU_CYCLE_1)
	s_and_not1_b32 vcc_lo, exec_lo, s65
	s_mov_b32 s6, -1
	s_waitcnt_vscnt null, 0x0
	s_barrier
	buffer_gl0_inv
                                        ; implicit-def: $sgpr38
	s_cbranch_vccnz .LBB1_73
; %bb.72:                               ;   in Loop: Header=BB1_6 Depth=1
	s_add_i32 s6, s64, -1
	s_delay_alu instid0(SALU_CYCLE_1)
	s_mul_i32 s38, s6, s18
	s_mov_b32 s6, 0
	s_ashr_i32 s39, s38, 31
.LBB1_73:                               ;   in Loop: Header=BB1_6 Depth=1
	s_and_not1_b32 vcc_lo, exec_lo, s6
	s_cbranch_vccnz .LBB1_82
; %bb.74:                               ;   in Loop: Header=BB1_6 Depth=1
	s_add_i32 s6, s64, 1
	s_delay_alu instid0(SALU_CYCLE_1) | instskip(NEXT) | instid1(SALU_CYCLE_1)
	s_mul_i32 s6, s6, s18
	s_sub_i32 s38, s6, s48
	s_delay_alu instid0(SALU_CYCLE_1)
	s_ashr_i32 s39, s38, 31
	s_and_saveexec_b32 s37, s5
	s_cbranch_execz .LBB1_81
; %bb.75:                               ;   in Loop: Header=BB1_6 Depth=1
	ds_load_b32 v3, v2 offset:2048
	s_add_i32 s68, s8, 1
	s_not_b32 s65, s8
	s_ashr_i32 s7, s6, 31
	s_mul_i32 s68, s68, s17
	s_lshl_b64 s[66:67], s[38:39], 2
	s_add_i32 s65, s65, s18
	s_lshl_b64 s[70:71], s[6:7], 2
	s_ashr_i32 s69, s68, 31
	s_add_u32 s7, s43, s66
	s_addc_u32 s66, s44, s67
	s_cmp_gt_i32 s65, 0
	s_cselect_b32 s67, -1, 0
	s_lshl_b64 s[68:69], s[68:69], 2
	s_waitcnt lgkmcnt(0)
	v_ashrrev_i32_e32 v4, 31, v3
	s_delay_alu instid0(VALU_DEP_1) | instskip(NEXT) | instid1(VALU_DEP_1)
	v_lshlrev_b64 v[3:4], 2, v[3:4]
	v_add_co_u32 v1, vcc_lo, s43, v3
	s_delay_alu instid0(VALU_DEP_2) | instskip(SKIP_2) | instid1(VALU_DEP_4)
	v_add_co_ci_u32_e32 v6, vcc_lo, s44, v4, vcc_lo
	v_add_co_u32 v3, vcc_lo, v14, s68
	v_add_co_ci_u32_e32 v4, vcc_lo, s69, v15, vcc_lo
	v_add_co_u32 v5, vcc_lo, v1, s70
	s_delay_alu instid0(VALU_DEP_4)
	v_add_co_ci_u32_e32 v6, vcc_lo, s71, v6, vcc_lo
	v_mov_b32_e32 v1, v0
	s_mov_b32 s68, 0
	s_set_inst_prefetch_distance 0x1
	s_branch .LBB1_77
	.p2align	6
.LBB1_76:                               ;   in Loop: Header=BB1_77 Depth=2
	v_lshlrev_b64 v[7:8], 2, v[1:2]
	v_add_nc_u32_e32 v1, 0x100, v1
	v_add_co_u32 v3, s6, 0x400, v3
	s_delay_alu instid0(VALU_DEP_1) | instskip(NEXT) | instid1(VALU_DEP_4)
	v_add_co_ci_u32_e64 v4, s6, 0, v4, s6
	v_add_co_u32 v7, vcc_lo, s7, v7
	v_add_co_ci_u32_e32 v8, vcc_lo, s66, v8, vcc_lo
	v_cmp_lt_i32_e32 vcc_lo, s8, v1
	global_load_b32 v9, v[7:8], off
	s_or_b32 s68, vcc_lo, s68
	s_waitcnt vmcnt(0)
	v_sub_f32_e32 v9, v9, v21
	global_store_b32 v[7:8], v9, off
	s_and_not1_b32 exec_lo, exec_lo, s68
	s_cbranch_execz .LBB1_81
.LBB1_77:                               ;   Parent Loop BB1_6 Depth=1
                                        ; =>  This Loop Header: Depth=2
                                        ;       Child Loop BB1_79 Depth 3
	v_mov_b32_e32 v21, 0
	s_and_not1_b32 vcc_lo, exec_lo, s67
	s_cbranch_vccnz .LBB1_76
; %bb.78:                               ;   in Loop: Header=BB1_77 Depth=2
	v_dual_mov_b32 v8, v4 :: v_dual_mov_b32 v7, v3
	v_dual_mov_b32 v10, v6 :: v_dual_mov_b32 v9, v5
	s_mov_b32 s6, s65
.LBB1_79:                               ;   Parent Loop BB1_6 Depth=1
                                        ;     Parent Loop BB1_77 Depth=2
                                        ; =>    This Inner Loop Header: Depth=3
	global_load_b32 v22, v[7:8], off
	global_load_b32 v23, v[9:10], off
	v_add_co_u32 v9, vcc_lo, v9, s30
	v_add_co_ci_u32_e32 v10, vcc_lo, s31, v10, vcc_lo
	v_add_co_u32 v7, vcc_lo, v7, s34
	v_add_co_ci_u32_e32 v8, vcc_lo, s35, v8, vcc_lo
	s_add_i32 s6, s6, -1
	s_delay_alu instid0(SALU_CYCLE_1)
	s_cmp_eq_u32 s6, 0
	s_waitcnt vmcnt(0)
	v_fmac_f32_e32 v21, v22, v23
	s_cbranch_scc0 .LBB1_79
	s_branch .LBB1_76
.LBB1_80:                               ;   in Loop: Header=BB1_6 Depth=1
                                        ; implicit-def: $sgpr6
                                        ; implicit-def: $sgpr7
                                        ; implicit-def: $sgpr5
	s_cbranch_execz .LBB1_195
	s_branch .LBB1_210
.LBB1_81:                               ;   in Loop: Header=BB1_6 Depth=1
	s_set_inst_prefetch_distance 0x2
	s_or_b32 exec_lo, exec_lo, s37
	s_waitcnt_vscnt null, 0x0
	s_barrier
	buffer_gl0_inv
.LBB1_82:                               ;   in Loop: Header=BB1_6 Depth=1
	ds_load_b32 v3, v2 offset:2048
	v_bfrev_b32_e32 v1, -2
	v_mov_b32_e32 v5, 0
	s_mov_b32 s7, exec_lo
	s_waitcnt lgkmcnt(0)
	v_sub_nc_u32_e32 v6, s8, v3
	s_delay_alu instid0(VALU_DEP_1)
	v_cmpx_gt_i32_e64 v6, v0
	s_cbranch_execz .LBB1_86
; %bb.83:                               ;   in Loop: Header=BB1_6 Depth=1
	v_ashrrev_i32_e32 v4, 31, v3
	s_lshl_b64 s[66:67], s[38:39], 2
	v_bfrev_b32_e32 v1, -2
	v_mov_b32_e32 v5, 0
	v_mov_b32_e32 v7, v0
	v_lshlrev_b64 v[3:4], 2, v[3:4]
	s_mov_b32 s37, 0
	s_delay_alu instid0(VALU_DEP_1) | instskip(NEXT) | instid1(VALU_DEP_2)
	v_add_co_u32 v3, vcc_lo, s66, v3
	v_add_co_ci_u32_e32 v4, vcc_lo, s67, v4, vcc_lo
	s_delay_alu instid0(VALU_DEP_2) | instskip(NEXT) | instid1(VALU_DEP_2)
	v_add_co_u32 v3, vcc_lo, v18, v3
	v_add_co_ci_u32_e32 v4, vcc_lo, v19, v4, vcc_lo
	.p2align	6
.LBB1_84:                               ;   Parent Loop BB1_6 Depth=1
                                        ; =>  This Inner Loop Header: Depth=2
	global_load_b32 v8, v[3:4], off
	v_cmp_eq_u32_e32 vcc_lo, 0x7fffffff, v1
	v_add_nc_u32_e32 v9, 1, v7
	v_add_nc_u32_e32 v7, 0x100, v7
	v_add_co_u32 v3, s6, 0x400, v3
	s_delay_alu instid0(VALU_DEP_1) | instskip(NEXT) | instid1(VALU_DEP_3)
	v_add_co_ci_u32_e64 v4, s6, 0, v4, s6
	v_cmp_ge_i32_e64 s6, v7, v6
	s_waitcnt vmcnt(0)
	v_cmp_lt_f32_e64 s65, v5, |v8|
	s_delay_alu instid0(VALU_DEP_1) | instskip(NEXT) | instid1(VALU_DEP_2)
	s_or_b32 vcc_lo, s65, vcc_lo
	s_or_b32 s37, s6, s37
	v_cndmask_b32_e64 v5, v5, |v8|, vcc_lo
	v_cndmask_b32_e32 v1, v1, v9, vcc_lo
	s_and_not1_b32 exec_lo, exec_lo, s37
	s_cbranch_execnz .LBB1_84
; %bb.85:                               ;   in Loop: Header=BB1_6 Depth=1
	s_or_b32 exec_lo, exec_lo, s37
.LBB1_86:                               ;   in Loop: Header=BB1_6 Depth=1
	s_delay_alu instid0(SALU_CYCLE_1)
	s_or_b32 exec_lo, exec_lo, s7
	v_cmp_gt_i32_e32 vcc_lo, 2, v6
	ds_store_b32 v13, v5
	ds_store_b32 v12, v1
	s_waitcnt lgkmcnt(0)
	s_barrier
	buffer_gl0_inv
	s_cbranch_vccnz .LBB1_123
; %bb.87:                               ;   in Loop: Header=BB1_6 Depth=1
	s_and_saveexec_b32 s7, s0
	s_cbranch_execz .LBB1_93
; %bb.88:                               ;   in Loop: Header=BB1_6 Depth=1
	ds_load_b32 v3, v13 offset:512
	ds_load_b32 v4, v12 offset:512
	s_mov_b32 s65, exec_lo
	s_waitcnt lgkmcnt(1)
	v_cmp_lt_f32_e64 s37, v5, v3
	v_cmpx_nlt_f32_e32 v5, v3
	s_cbranch_execz .LBB1_90
; %bb.89:                               ;   in Loop: Header=BB1_6 Depth=1
	v_cmp_eq_f32_e32 vcc_lo, v5, v3
	s_waitcnt lgkmcnt(0)
	v_cmp_gt_i32_e64 s6, v1, v4
	s_and_not1_b32 s37, s37, exec_lo
	s_delay_alu instid0(VALU_DEP_1) | instskip(NEXT) | instid1(SALU_CYCLE_1)
	s_and_b32 s6, vcc_lo, s6
	s_and_b32 s6, s6, exec_lo
	s_delay_alu instid0(SALU_CYCLE_1)
	s_or_b32 s37, s37, s6
.LBB1_90:                               ;   in Loop: Header=BB1_6 Depth=1
	s_or_b32 exec_lo, exec_lo, s65
	s_delay_alu instid0(VALU_DEP_2)
	s_and_saveexec_b32 s6, s37
	s_cbranch_execz .LBB1_92
; %bb.91:                               ;   in Loop: Header=BB1_6 Depth=1
	s_waitcnt lgkmcnt(0)
	v_mov_b32_e32 v1, v4
	v_mov_b32_e32 v5, v3
	ds_store_b32 v13, v3
	ds_store_b32 v12, v4
.LBB1_92:                               ;   in Loop: Header=BB1_6 Depth=1
	s_or_b32 exec_lo, exec_lo, s6
.LBB1_93:                               ;   in Loop: Header=BB1_6 Depth=1
	s_delay_alu instid0(SALU_CYCLE_1)
	s_or_b32 exec_lo, exec_lo, s7
	s_waitcnt lgkmcnt(0)
	s_barrier
	buffer_gl0_inv
	s_and_saveexec_b32 s7, s1
	s_cbranch_execz .LBB1_99
; %bb.94:                               ;   in Loop: Header=BB1_6 Depth=1
	ds_load_b32 v3, v13 offset:256
	ds_load_b32 v4, v12 offset:256
	s_mov_b32 s65, exec_lo
	s_waitcnt lgkmcnt(1)
	v_cmp_lt_f32_e64 s37, v5, v3
	v_cmpx_nlt_f32_e32 v5, v3
	s_cbranch_execz .LBB1_96
; %bb.95:                               ;   in Loop: Header=BB1_6 Depth=1
	v_cmp_eq_f32_e32 vcc_lo, v5, v3
	s_waitcnt lgkmcnt(0)
	v_cmp_gt_i32_e64 s6, v1, v4
	s_and_not1_b32 s37, s37, exec_lo
	s_delay_alu instid0(VALU_DEP_1) | instskip(NEXT) | instid1(SALU_CYCLE_1)
	s_and_b32 s6, vcc_lo, s6
	s_and_b32 s6, s6, exec_lo
	s_delay_alu instid0(SALU_CYCLE_1)
	s_or_b32 s37, s37, s6
.LBB1_96:                               ;   in Loop: Header=BB1_6 Depth=1
	s_or_b32 exec_lo, exec_lo, s65
	s_delay_alu instid0(VALU_DEP_2)
	s_and_saveexec_b32 s6, s37
	s_cbranch_execz .LBB1_98
; %bb.97:                               ;   in Loop: Header=BB1_6 Depth=1
	s_waitcnt lgkmcnt(0)
	v_mov_b32_e32 v1, v4
	v_mov_b32_e32 v5, v3
	ds_store_b32 v13, v3
	ds_store_b32 v12, v4
.LBB1_98:                               ;   in Loop: Header=BB1_6 Depth=1
	s_or_b32 exec_lo, exec_lo, s6
.LBB1_99:                               ;   in Loop: Header=BB1_6 Depth=1
	s_delay_alu instid0(SALU_CYCLE_1)
	s_or_b32 exec_lo, exec_lo, s7
	s_waitcnt lgkmcnt(0)
	s_barrier
	buffer_gl0_inv
	s_and_saveexec_b32 s37, s3
	s_cbranch_execz .LBB1_122
; %bb.100:                              ;   in Loop: Header=BB1_6 Depth=1
	ds_load_b32 v3, v13 offset:128
	ds_load_b32 v4, v12 offset:128
	s_mov_b32 s65, exec_lo
	s_waitcnt lgkmcnt(1)
	v_cmp_lt_f32_e64 s7, v5, v3
	v_cmpx_nlt_f32_e32 v5, v3
	s_cbranch_execz .LBB1_102
; %bb.101:                              ;   in Loop: Header=BB1_6 Depth=1
	v_cmp_eq_f32_e32 vcc_lo, v5, v3
	s_waitcnt lgkmcnt(0)
	v_cmp_gt_i32_e64 s6, v1, v4
	s_and_not1_b32 s7, s7, exec_lo
	s_delay_alu instid0(VALU_DEP_1) | instskip(NEXT) | instid1(SALU_CYCLE_1)
	s_and_b32 s6, vcc_lo, s6
	s_and_b32 s6, s6, exec_lo
	s_delay_alu instid0(SALU_CYCLE_1)
	s_or_b32 s7, s7, s6
.LBB1_102:                              ;   in Loop: Header=BB1_6 Depth=1
	s_or_b32 exec_lo, exec_lo, s65
	s_delay_alu instid0(VALU_DEP_2)
	s_and_saveexec_b32 s6, s7
	s_cbranch_execz .LBB1_104
; %bb.103:                              ;   in Loop: Header=BB1_6 Depth=1
	v_mov_b32_e32 v5, v3
	s_waitcnt lgkmcnt(0)
	v_mov_b32_e32 v1, v4
	ds_store_b32 v13, v3
	ds_store_b32 v12, v4
.LBB1_104:                              ;   in Loop: Header=BB1_6 Depth=1
	s_or_b32 exec_lo, exec_lo, s6
	ds_load_b32 v3, v13 offset:64
	s_waitcnt lgkmcnt(1)
	ds_load_b32 v4, v12 offset:64
	s_mov_b32 s65, exec_lo
	s_waitcnt lgkmcnt(1)
	v_cmp_lt_f32_e64 s7, v5, v3
	v_cmpx_nlt_f32_e32 v5, v3
	s_cbranch_execz .LBB1_106
; %bb.105:                              ;   in Loop: Header=BB1_6 Depth=1
	v_cmp_eq_f32_e32 vcc_lo, v5, v3
	s_waitcnt lgkmcnt(0)
	v_cmp_gt_i32_e64 s6, v1, v4
	s_and_not1_b32 s7, s7, exec_lo
	s_delay_alu instid0(VALU_DEP_1) | instskip(NEXT) | instid1(SALU_CYCLE_1)
	s_and_b32 s6, vcc_lo, s6
	s_and_b32 s6, s6, exec_lo
	s_delay_alu instid0(SALU_CYCLE_1)
	s_or_b32 s7, s7, s6
.LBB1_106:                              ;   in Loop: Header=BB1_6 Depth=1
	s_or_b32 exec_lo, exec_lo, s65
	s_delay_alu instid0(VALU_DEP_2)
	s_and_saveexec_b32 s6, s7
	s_cbranch_execz .LBB1_108
; %bb.107:                              ;   in Loop: Header=BB1_6 Depth=1
	v_mov_b32_e32 v5, v3
	s_waitcnt lgkmcnt(0)
	v_mov_b32_e32 v1, v4
	ds_store_b32 v13, v3
	ds_store_b32 v12, v4
.LBB1_108:                              ;   in Loop: Header=BB1_6 Depth=1
	s_or_b32 exec_lo, exec_lo, s6
	ds_load_b32 v3, v13 offset:32
	s_waitcnt lgkmcnt(1)
	;; [unrolled: 31-line block ×5, first 2 shown]
	ds_load_b32 v4, v12 offset:4
	s_waitcnt lgkmcnt(1)
	v_cmp_eq_f32_e32 vcc_lo, v5, v3
	s_waitcnt lgkmcnt(0)
	v_cmp_gt_i32_e64 s6, v1, v4
	v_cmp_lt_f32_e64 s7, v5, v3
	s_delay_alu instid0(VALU_DEP_2)
	s_and_b32 s6, vcc_lo, s6
	s_delay_alu instid0(VALU_DEP_1) | instid1(SALU_CYCLE_1)
	s_or_b32 s6, s7, s6
	s_delay_alu instid0(SALU_CYCLE_1)
	s_and_b32 exec_lo, exec_lo, s6
	s_cbranch_execz .LBB1_122
; %bb.121:                              ;   in Loop: Header=BB1_6 Depth=1
	ds_store_b32 v13, v3
	ds_store_b32 v12, v4
.LBB1_122:                              ;   in Loop: Header=BB1_6 Depth=1
	s_or_b32 exec_lo, exec_lo, s37
.LBB1_123:                              ;   in Loop: Header=BB1_6 Depth=1
	s_and_saveexec_b32 s6, s2
	s_cbranch_execz .LBB1_125
; %bb.124:                              ;   in Loop: Header=BB1_6 Depth=1
	ds_load_b32 v1, v2 offset:1024
	s_waitcnt lgkmcnt(0)
	ds_store_b32 v2, v1 offset:2064
.LBB1_125:                              ;   in Loop: Header=BB1_6 Depth=1
	s_or_b32 exec_lo, exec_lo, s6
	ds_load_b32 v6, v2 offset:2048
	s_waitcnt lgkmcnt(0)
	v_cmp_gt_i32_e32 vcc_lo, 1, v6
	s_cbranch_vccnz .LBB1_170
; %bb.126:                              ;   in Loop: Header=BB1_6 Depth=1
	v_bfrev_b32_e32 v5, -2
	v_mov_b32_e32 v1, 0
	s_mov_b32 s7, exec_lo
	v_cmpx_gt_i32_e64 v6, v0
	s_cbranch_execz .LBB1_130
; %bb.127:                              ;   in Loop: Header=BB1_6 Depth=1
	s_lshl_b64 s[66:67], s[38:39], 2
	v_bfrev_b32_e32 v5, -2
	v_add_co_u32 v3, vcc_lo, v16, s66
	v_add_co_ci_u32_e32 v4, vcc_lo, s67, v17, vcc_lo
	v_mov_b32_e32 v1, 0
	v_mov_b32_e32 v7, v0
	s_mov_b32 s37, 0
	.p2align	6
.LBB1_128:                              ;   Parent Loop BB1_6 Depth=1
                                        ; =>  This Inner Loop Header: Depth=2
	global_load_b32 v8, v[3:4], off
	v_cmp_eq_u32_e32 vcc_lo, 0x7fffffff, v5
	v_add_nc_u32_e32 v9, 1, v7
	v_add_nc_u32_e32 v7, 0x100, v7
	v_add_co_u32 v3, s6, 0x400, v3
	s_delay_alu instid0(VALU_DEP_1) | instskip(NEXT) | instid1(VALU_DEP_3)
	v_add_co_ci_u32_e64 v4, s6, 0, v4, s6
	v_cmp_ge_i32_e64 s6, v7, v6
	s_waitcnt vmcnt(0)
	v_cmp_lt_f32_e64 s39, v1, |v8|
	s_delay_alu instid0(VALU_DEP_1) | instskip(NEXT) | instid1(VALU_DEP_2)
	s_or_b32 vcc_lo, s39, vcc_lo
	s_or_b32 s37, s6, s37
	v_cndmask_b32_e64 v1, v1, |v8|, vcc_lo
	v_cndmask_b32_e32 v5, v5, v9, vcc_lo
	s_and_not1_b32 exec_lo, exec_lo, s37
	s_cbranch_execnz .LBB1_128
; %bb.129:                              ;   in Loop: Header=BB1_6 Depth=1
	s_or_b32 exec_lo, exec_lo, s37
.LBB1_130:                              ;   in Loop: Header=BB1_6 Depth=1
	s_delay_alu instid0(SALU_CYCLE_1)
	s_or_b32 exec_lo, exec_lo, s7
	v_cmp_eq_u32_e32 vcc_lo, 1, v6
	ds_store_b32 v13, v1
	ds_store_b32 v12, v5
	s_waitcnt lgkmcnt(0)
	s_barrier
	buffer_gl0_inv
	s_cbranch_vccnz .LBB1_167
; %bb.131:                              ;   in Loop: Header=BB1_6 Depth=1
	s_and_saveexec_b32 s7, s0
	s_cbranch_execz .LBB1_137
; %bb.132:                              ;   in Loop: Header=BB1_6 Depth=1
	ds_load_b32 v3, v13 offset:512
	ds_load_b32 v4, v12 offset:512
	s_mov_b32 s39, exec_lo
	s_waitcnt lgkmcnt(1)
	v_cmp_lt_f32_e64 s37, v1, v3
	v_cmpx_nlt_f32_e32 v1, v3
	s_cbranch_execz .LBB1_134
; %bb.133:                              ;   in Loop: Header=BB1_6 Depth=1
	v_cmp_eq_f32_e32 vcc_lo, v1, v3
	s_waitcnt lgkmcnt(0)
	v_cmp_gt_i32_e64 s6, v5, v4
	s_and_not1_b32 s37, s37, exec_lo
	s_delay_alu instid0(VALU_DEP_1) | instskip(NEXT) | instid1(SALU_CYCLE_1)
	s_and_b32 s6, vcc_lo, s6
	s_and_b32 s6, s6, exec_lo
	s_delay_alu instid0(SALU_CYCLE_1)
	s_or_b32 s37, s37, s6
.LBB1_134:                              ;   in Loop: Header=BB1_6 Depth=1
	s_or_b32 exec_lo, exec_lo, s39
	s_delay_alu instid0(VALU_DEP_2)
	s_and_saveexec_b32 s6, s37
	s_cbranch_execz .LBB1_136
; %bb.135:                              ;   in Loop: Header=BB1_6 Depth=1
	s_waitcnt lgkmcnt(0)
	v_mov_b32_e32 v5, v4
	v_mov_b32_e32 v1, v3
	ds_store_b32 v13, v3
	ds_store_b32 v12, v4
.LBB1_136:                              ;   in Loop: Header=BB1_6 Depth=1
	s_or_b32 exec_lo, exec_lo, s6
.LBB1_137:                              ;   in Loop: Header=BB1_6 Depth=1
	s_delay_alu instid0(SALU_CYCLE_1)
	s_or_b32 exec_lo, exec_lo, s7
	s_waitcnt lgkmcnt(0)
	s_barrier
	buffer_gl0_inv
	s_and_saveexec_b32 s7, s1
	s_cbranch_execz .LBB1_143
; %bb.138:                              ;   in Loop: Header=BB1_6 Depth=1
	ds_load_b32 v3, v13 offset:256
	ds_load_b32 v4, v12 offset:256
	s_mov_b32 s39, exec_lo
	s_waitcnt lgkmcnt(1)
	v_cmp_lt_f32_e64 s37, v1, v3
	v_cmpx_nlt_f32_e32 v1, v3
	s_cbranch_execz .LBB1_140
; %bb.139:                              ;   in Loop: Header=BB1_6 Depth=1
	v_cmp_eq_f32_e32 vcc_lo, v1, v3
	s_waitcnt lgkmcnt(0)
	v_cmp_gt_i32_e64 s6, v5, v4
	s_and_not1_b32 s37, s37, exec_lo
	s_delay_alu instid0(VALU_DEP_1) | instskip(NEXT) | instid1(SALU_CYCLE_1)
	s_and_b32 s6, vcc_lo, s6
	s_and_b32 s6, s6, exec_lo
	s_delay_alu instid0(SALU_CYCLE_1)
	s_or_b32 s37, s37, s6
.LBB1_140:                              ;   in Loop: Header=BB1_6 Depth=1
	s_or_b32 exec_lo, exec_lo, s39
	s_delay_alu instid0(VALU_DEP_2)
	s_and_saveexec_b32 s6, s37
	s_cbranch_execz .LBB1_142
; %bb.141:                              ;   in Loop: Header=BB1_6 Depth=1
	s_waitcnt lgkmcnt(0)
	v_mov_b32_e32 v5, v4
	v_mov_b32_e32 v1, v3
	ds_store_b32 v13, v3
	ds_store_b32 v12, v4
.LBB1_142:                              ;   in Loop: Header=BB1_6 Depth=1
	s_or_b32 exec_lo, exec_lo, s6
.LBB1_143:                              ;   in Loop: Header=BB1_6 Depth=1
	s_delay_alu instid0(SALU_CYCLE_1)
	s_or_b32 exec_lo, exec_lo, s7
	s_waitcnt lgkmcnt(0)
	s_barrier
	buffer_gl0_inv
	s_and_saveexec_b32 s37, s3
	s_cbranch_execz .LBB1_166
; %bb.144:                              ;   in Loop: Header=BB1_6 Depth=1
	ds_load_b32 v3, v13 offset:128
	ds_load_b32 v4, v12 offset:128
	s_mov_b32 s39, exec_lo
	s_waitcnt lgkmcnt(1)
	v_cmp_lt_f32_e64 s7, v1, v3
	v_cmpx_nlt_f32_e32 v1, v3
	s_cbranch_execz .LBB1_146
; %bb.145:                              ;   in Loop: Header=BB1_6 Depth=1
	v_cmp_eq_f32_e32 vcc_lo, v1, v3
	s_waitcnt lgkmcnt(0)
	v_cmp_gt_i32_e64 s6, v5, v4
	s_and_not1_b32 s7, s7, exec_lo
	s_delay_alu instid0(VALU_DEP_1) | instskip(NEXT) | instid1(SALU_CYCLE_1)
	s_and_b32 s6, vcc_lo, s6
	s_and_b32 s6, s6, exec_lo
	s_delay_alu instid0(SALU_CYCLE_1)
	s_or_b32 s7, s7, s6
.LBB1_146:                              ;   in Loop: Header=BB1_6 Depth=1
	s_or_b32 exec_lo, exec_lo, s39
	s_delay_alu instid0(VALU_DEP_2)
	s_and_saveexec_b32 s6, s7
	s_cbranch_execz .LBB1_148
; %bb.147:                              ;   in Loop: Header=BB1_6 Depth=1
	v_mov_b32_e32 v1, v3
	s_waitcnt lgkmcnt(0)
	v_mov_b32_e32 v5, v4
	ds_store_b32 v13, v3
	ds_store_b32 v12, v4
.LBB1_148:                              ;   in Loop: Header=BB1_6 Depth=1
	s_or_b32 exec_lo, exec_lo, s6
	ds_load_b32 v3, v13 offset:64
	s_waitcnt lgkmcnt(1)
	ds_load_b32 v4, v12 offset:64
	s_mov_b32 s39, exec_lo
	s_waitcnt lgkmcnt(1)
	v_cmp_lt_f32_e64 s7, v1, v3
	v_cmpx_nlt_f32_e32 v1, v3
	s_cbranch_execz .LBB1_150
; %bb.149:                              ;   in Loop: Header=BB1_6 Depth=1
	v_cmp_eq_f32_e32 vcc_lo, v1, v3
	s_waitcnt lgkmcnt(0)
	v_cmp_gt_i32_e64 s6, v5, v4
	s_and_not1_b32 s7, s7, exec_lo
	s_delay_alu instid0(VALU_DEP_1) | instskip(NEXT) | instid1(SALU_CYCLE_1)
	s_and_b32 s6, vcc_lo, s6
	s_and_b32 s6, s6, exec_lo
	s_delay_alu instid0(SALU_CYCLE_1)
	s_or_b32 s7, s7, s6
.LBB1_150:                              ;   in Loop: Header=BB1_6 Depth=1
	s_or_b32 exec_lo, exec_lo, s39
	s_delay_alu instid0(VALU_DEP_2)
	s_and_saveexec_b32 s6, s7
	s_cbranch_execz .LBB1_152
; %bb.151:                              ;   in Loop: Header=BB1_6 Depth=1
	v_mov_b32_e32 v1, v3
	s_waitcnt lgkmcnt(0)
	v_mov_b32_e32 v5, v4
	ds_store_b32 v13, v3
	ds_store_b32 v12, v4
.LBB1_152:                              ;   in Loop: Header=BB1_6 Depth=1
	s_or_b32 exec_lo, exec_lo, s6
	ds_load_b32 v3, v13 offset:32
	s_waitcnt lgkmcnt(1)
	;; [unrolled: 31-line block ×5, first 2 shown]
	ds_load_b32 v4, v12 offset:4
	s_waitcnt lgkmcnt(1)
	v_cmp_eq_f32_e32 vcc_lo, v1, v3
	s_waitcnt lgkmcnt(0)
	v_cmp_gt_i32_e64 s6, v5, v4
	v_cmp_lt_f32_e64 s7, v1, v3
	s_delay_alu instid0(VALU_DEP_2)
	s_and_b32 s6, vcc_lo, s6
	s_delay_alu instid0(VALU_DEP_1) | instid1(SALU_CYCLE_1)
	s_or_b32 s6, s7, s6
	s_delay_alu instid0(SALU_CYCLE_1)
	s_and_b32 exec_lo, exec_lo, s6
	s_cbranch_execz .LBB1_166
; %bb.165:                              ;   in Loop: Header=BB1_6 Depth=1
	ds_store_b32 v13, v3
	ds_store_b32 v12, v4
.LBB1_166:                              ;   in Loop: Header=BB1_6 Depth=1
	s_or_b32 exec_lo, exec_lo, s37
.LBB1_167:                              ;   in Loop: Header=BB1_6 Depth=1
	s_and_saveexec_b32 s6, s2
	s_cbranch_execz .LBB1_169
; %bb.168:                              ;   in Loop: Header=BB1_6 Depth=1
	ds_load_b32 v1, v2 offset:2064
	ds_load_b32 v3, v2 offset:1024
	s_waitcnt lgkmcnt(0)
	v_cmp_lt_f32_e32 vcc_lo, v1, v3
	v_cndmask_b32_e32 v1, v1, v3, vcc_lo
	ds_store_b32 v2, v1 offset:2064
.LBB1_169:                              ;   in Loop: Header=BB1_6 Depth=1
	s_or_b32 exec_lo, exec_lo, s6
.LBB1_170:                              ;   in Loop: Header=BB1_6 Depth=1
	s_waitcnt lgkmcnt(0)
	s_barrier
	buffer_gl0_inv
	ds_load_b64 v[3:4], v2 offset:2056
	ds_load_b32 v1, v2 offset:2064
	s_waitcnt lgkmcnt(0)
	v_div_scale_f32 v5, null, v1, v1, v4
	s_delay_alu instid0(VALU_DEP_1) | instskip(SKIP_2) | instid1(VALU_DEP_1)
	v_rcp_f32_e32 v6, v5
	s_waitcnt_depctr 0xfff
	v_fma_f32 v7, -v5, v6, 1.0
	v_fmac_f32_e32 v6, v7, v6
	v_div_scale_f32 v7, vcc_lo, v4, v1, v4
	s_delay_alu instid0(VALU_DEP_1) | instskip(NEXT) | instid1(VALU_DEP_1)
	v_mul_f32_e32 v8, v7, v6
	v_fma_f32 v9, -v5, v8, v7
	s_delay_alu instid0(VALU_DEP_1) | instskip(NEXT) | instid1(VALU_DEP_1)
	v_fmac_f32_e32 v8, v9, v6
	v_fma_f32 v5, -v5, v8, v7
	s_delay_alu instid0(VALU_DEP_1) | instskip(SKIP_1) | instid1(VALU_DEP_2)
	v_div_fmas_f32 v5, v5, v6, v8
	v_mul_f32_e32 v6, 0x3f23f07b, v4
	v_div_fixup_f32 v4, v5, v1, v4
	s_delay_alu instid0(VALU_DEP_1) | instskip(NEXT) | instid1(VALU_DEP_1)
	v_mul_f32_e32 v4, v6, v4
	v_cmp_ge_f32_e32 vcc_lo, v3, v4
	s_cbranch_vccnz .LBB1_176
; %bb.171:                              ;   in Loop: Header=BB1_6 Depth=1
	ds_load_b32 v3, v2 offset:2048
	v_mul_f32_e32 v1, 0x3f23f07b, v1
	s_waitcnt lgkmcnt(0)
	v_readfirstlane_b32 s6, v3
	s_delay_alu instid0(VALU_DEP_1) | instskip(NEXT) | instid1(SALU_CYCLE_1)
	s_add_i32 s6, s6, s38
	s_ashr_i32 s7, s6, 31
	s_delay_alu instid0(SALU_CYCLE_1) | instskip(NEXT) | instid1(SALU_CYCLE_1)
	s_lshl_b64 s[6:7], s[6:7], 2
	s_add_u32 s6, s43, s6
	s_addc_u32 s7, s44, s7
	global_load_b32 v4, v2, s[6:7]
	v_readfirstlane_b32 s6, v3
	s_waitcnt vmcnt(0)
	v_cmp_nge_f32_e64 s7, |v4|, v1
	s_delay_alu instid0(VALU_DEP_1)
	s_and_b32 vcc_lo, exec_lo, s7
	s_cbranch_vccnz .LBB1_217
; %bb.172:                              ;   in Loop: Header=BB1_6 Depth=1
	s_and_saveexec_b32 s7, s5
	s_cbranch_execz .LBB1_175
; %bb.173:                              ;   in Loop: Header=BB1_6 Depth=1
	v_add_nc_u32_e32 v3, s36, v0
	v_add_nc_u32_e32 v5, s38, v0
	v_mov_b32_e32 v1, v0
	s_mov_b32 s37, 0
	s_delay_alu instid0(VALU_DEP_3) | instskip(NEXT) | instid1(VALU_DEP_3)
	v_ashrrev_i32_e32 v4, 31, v3
	v_ashrrev_i32_e32 v6, 31, v5
	s_delay_alu instid0(VALU_DEP_2) | instskip(NEXT) | instid1(VALU_DEP_2)
	v_lshlrev_b64 v[3:4], 2, v[3:4]
	v_lshlrev_b64 v[5:6], 2, v[5:6]
	s_delay_alu instid0(VALU_DEP_2) | instskip(NEXT) | instid1(VALU_DEP_3)
	v_add_co_u32 v3, vcc_lo, s57, v3
	v_add_co_ci_u32_e32 v4, vcc_lo, s58, v4, vcc_lo
	s_delay_alu instid0(VALU_DEP_3) | instskip(NEXT) | instid1(VALU_DEP_4)
	v_add_co_u32 v5, vcc_lo, s57, v5
	v_add_co_ci_u32_e32 v6, vcc_lo, s58, v6, vcc_lo
	.p2align	6
.LBB1_174:                              ;   Parent Loop BB1_6 Depth=1
                                        ; =>  This Inner Loop Header: Depth=2
	global_load_b32 v7, v[5:6], off
	v_add_nc_u32_e32 v1, 0x100, v1
	v_add_co_u32 v5, vcc_lo, 0x400, v5
	v_add_co_ci_u32_e32 v6, vcc_lo, 0, v6, vcc_lo
	s_delay_alu instid0(VALU_DEP_3) | instskip(SKIP_4) | instid1(VALU_DEP_1)
	v_cmp_lt_i32_e32 vcc_lo, s8, v1
	s_or_b32 s37, vcc_lo, s37
	s_waitcnt vmcnt(0)
	global_store_b32 v[3:4], v7, off
	v_add_co_u32 v3, s5, 0x400, v3
	v_add_co_ci_u32_e64 v4, s5, 0, v4, s5
	s_and_not1_b32 exec_lo, exec_lo, s37
	s_cbranch_execnz .LBB1_174
.LBB1_175:                              ;   in Loop: Header=BB1_6 Depth=1
	s_or_b32 exec_lo, exec_lo, s7
	s_mov_b32 s7, -1
	s_mov_b32 s38, -1
	s_waitcnt_vscnt null, 0x0
	s_barrier
	buffer_gl0_inv
	s_add_i32 s37, s38, s8
	s_delay_alu instid0(SALU_CYCLE_1) | instskip(NEXT) | instid1(SALU_CYCLE_1)
	s_add_i32 s39, s37, 1
	s_cmp_eq_u32 s6, s39
	s_cbranch_scc0 .LBB1_177
	s_branch .LBB1_192
.LBB1_176:                              ;   in Loop: Header=BB1_6 Depth=1
	s_mov_b32 s7, -1
	s_mov_b32 s38, -1
	s_mov_b32 s6, s8
	s_add_i32 s37, s38, s8
	s_delay_alu instid0(SALU_CYCLE_1) | instskip(NEXT) | instid1(SALU_CYCLE_1)
	s_add_i32 s39, s37, 1
	s_cmp_eq_u32 s6, s39
	s_cbranch_scc1 .LBB1_192
.LBB1_177:                              ;   in Loop: Header=BB1_6 Depth=1
	s_and_saveexec_b32 s5, s2
	s_cbranch_execz .LBB1_179
; %bb.178:                              ;   in Loop: Header=BB1_6 Depth=1
	s_mul_i32 s66, s39, s47
	s_delay_alu instid0(SALU_CYCLE_1) | instskip(NEXT) | instid1(SALU_CYCLE_1)
	s_ashr_i32 s67, s66, 31
	s_lshl_b64 s[66:67], s[66:67], 2
	s_delay_alu instid0(SALU_CYCLE_1) | instskip(SKIP_3) | instid1(SALU_CYCLE_1)
	s_add_u32 s66, s16, s66
	s_addc_u32 s67, s33, s67
	global_load_b32 v1, v2, s[66:67]
	s_mul_i32 s66, s6, s47
	s_ashr_i32 s67, s66, 31
	s_delay_alu instid0(SALU_CYCLE_1) | instskip(NEXT) | instid1(SALU_CYCLE_1)
	s_lshl_b64 s[66:67], s[66:67], 2
	s_add_u32 s66, s16, s66
	s_addc_u32 s67, s33, s67
	s_waitcnt vmcnt(0)
	global_store_b32 v2, v1, s[66:67]
.LBB1_179:                              ;   in Loop: Header=BB1_6 Depth=1
	s_or_b32 exec_lo, exec_lo, s5
	s_sub_i32 s65, s37, s6
	s_mov_b32 s66, exec_lo
	v_cmpx_gt_i32_e64 s65, v0
	s_cbranch_execz .LBB1_182
; %bb.180:                              ;   in Loop: Header=BB1_6 Depth=1
	v_add_nc_u32_e32 v1, s6, v11
	s_mul_i32 s5, s39, s17
	s_mov_b32 s68, 0
	s_add_i32 s67, s6, s5
	s_delay_alu instid0(SALU_CYCLE_1)
	s_add_i32 s67, s67, 1
	v_mad_u64_u32 v[3:4], null, s17, v1, s[6:7]
	v_mov_b32_e32 v1, v0
	.p2align	6
.LBB1_181:                              ;   Parent Loop BB1_6 Depth=1
                                        ; =>  This Inner Loop Header: Depth=2
	s_delay_alu instid0(VALU_DEP_1) | instskip(SKIP_1) | instid1(VALU_DEP_2)
	v_add_nc_u32_e32 v4, s67, v1
	v_add_nc_u32_e32 v1, 0x100, v1
	v_ashrrev_i32_e32 v5, 31, v4
	s_delay_alu instid0(VALU_DEP_1) | instskip(NEXT) | instid1(VALU_DEP_1)
	v_lshlrev_b64 v[4:5], 2, v[4:5]
	v_add_co_u32 v4, vcc_lo, s16, v4
	s_delay_alu instid0(VALU_DEP_2) | instskip(SKIP_4) | instid1(VALU_DEP_1)
	v_add_co_ci_u32_e32 v5, vcc_lo, s33, v5, vcc_lo
	v_cmp_le_i32_e32 vcc_lo, s65, v1
	global_load_b32 v6, v[4:5], off
	v_ashrrev_i32_e32 v4, 31, v3
	s_or_b32 s68, vcc_lo, s68
	v_lshlrev_b64 v[4:5], 2, v[3:4]
	v_add_nc_u32_e32 v3, s61, v3
	s_delay_alu instid0(VALU_DEP_2) | instskip(NEXT) | instid1(VALU_DEP_1)
	v_add_co_u32 v4, s5, s16, v4
	v_add_co_ci_u32_e64 v5, s5, s33, v5, s5
	s_waitcnt vmcnt(0)
	global_store_b32 v[4:5], v6, off
	s_and_not1_b32 exec_lo, exec_lo, s68
	s_cbranch_execnz .LBB1_181
.LBB1_182:                              ;   in Loop: Header=BB1_6 Depth=1
	s_or_b32 exec_lo, exec_lo, s66
	s_delay_alu instid0(SALU_CYCLE_1)
	s_mov_b32 s65, exec_lo
	v_cmpx_gt_i32_e64 s6, v0
	s_cbranch_execz .LBB1_185
; %bb.183:                              ;   in Loop: Header=BB1_6 Depth=1
	v_mad_u64_u32 v[3:4], null, s6, s17, v[0:1]
	v_mad_u64_u32 v[5:6], null, s39, s17, v[0:1]
	v_mov_b32_e32 v1, v0
	s_mov_b32 s66, 0
	s_delay_alu instid0(VALU_DEP_3) | instskip(NEXT) | instid1(VALU_DEP_3)
	v_ashrrev_i32_e32 v4, 31, v3
	v_ashrrev_i32_e32 v6, 31, v5
	s_delay_alu instid0(VALU_DEP_2) | instskip(NEXT) | instid1(VALU_DEP_2)
	v_lshlrev_b64 v[3:4], 2, v[3:4]
	v_lshlrev_b64 v[5:6], 2, v[5:6]
	s_delay_alu instid0(VALU_DEP_2) | instskip(NEXT) | instid1(VALU_DEP_3)
	v_add_co_u32 v3, vcc_lo, s59, v3
	v_add_co_ci_u32_e32 v4, vcc_lo, s60, v4, vcc_lo
	s_delay_alu instid0(VALU_DEP_3) | instskip(NEXT) | instid1(VALU_DEP_4)
	v_add_co_u32 v5, vcc_lo, s59, v5
	v_add_co_ci_u32_e32 v6, vcc_lo, s60, v6, vcc_lo
	.p2align	6
.LBB1_184:                              ;   Parent Loop BB1_6 Depth=1
                                        ; =>  This Inner Loop Header: Depth=2
	global_load_b32 v7, v[5:6], off
	v_add_nc_u32_e32 v1, 0x100, v1
	v_add_co_u32 v5, vcc_lo, 0x400, v5
	v_add_co_ci_u32_e32 v6, vcc_lo, 0, v6, vcc_lo
	s_delay_alu instid0(VALU_DEP_3) | instskip(SKIP_4) | instid1(VALU_DEP_1)
	v_cmp_le_i32_e32 vcc_lo, s6, v1
	s_or_b32 s66, vcc_lo, s66
	s_waitcnt vmcnt(0)
	global_store_b32 v[3:4], v7, off
	v_add_co_u32 v3, s5, 0x400, v3
	v_add_co_ci_u32_e64 v4, s5, 0, v4, s5
	s_and_not1_b32 exec_lo, exec_lo, s66
	s_cbranch_execnz .LBB1_184
.LBB1_185:                              ;   in Loop: Header=BB1_6 Depth=1
	s_or_b32 exec_lo, exec_lo, s65
	s_not_b32 s5, s8
	s_mov_b32 s65, exec_lo
	s_add_i32 s5, s5, s18
	s_waitcnt_vscnt null, 0x0
	s_barrier
	buffer_gl0_inv
	v_cmpx_gt_i32_e64 s5, v0
	s_cbranch_execz .LBB1_188
; %bb.186:                              ;   in Loop: Header=BB1_6 Depth=1
	v_add_nc_u32_e32 v1, s8, v11
	v_mov_b32_e32 v3, v0
	s_ashr_i32 s66, s37, 31
	s_mov_b32 s67, 0
	s_delay_alu instid0(VALU_DEP_2)
	v_mul_lo_u32 v1, s17, v1
	.p2align	6
.LBB1_187:                              ;   Parent Loop BB1_6 Depth=1
                                        ; =>  This Inner Loop Header: Depth=2
	s_delay_alu instid0(VALU_DEP_1) | instskip(SKIP_3) | instid1(VALU_DEP_4)
	v_add_nc_u32_e32 v4, s6, v1
	v_ashrrev_i32_e32 v7, 31, v1
	v_add_co_u32 v6, vcc_lo, v1, s37
	v_add_nc_u32_e32 v3, 0x100, v3
	v_ashrrev_i32_e32 v5, 31, v4
	s_delay_alu instid0(VALU_DEP_4) | instskip(SKIP_1) | instid1(VALU_DEP_3)
	v_add_co_ci_u32_e32 v7, vcc_lo, s66, v7, vcc_lo
	v_add_nc_u32_e32 v1, s61, v1
	v_lshlrev_b64 v[4:5], 2, v[4:5]
	s_delay_alu instid0(VALU_DEP_3) | instskip(NEXT) | instid1(VALU_DEP_2)
	v_lshlrev_b64 v[6:7], 2, v[6:7]
	v_add_co_u32 v4, vcc_lo, s16, v4
	s_delay_alu instid0(VALU_DEP_3) | instskip(NEXT) | instid1(VALU_DEP_3)
	v_add_co_ci_u32_e32 v5, vcc_lo, s33, v5, vcc_lo
	v_add_co_u32 v6, vcc_lo, s49, v6
	s_delay_alu instid0(VALU_DEP_4)
	v_add_co_ci_u32_e32 v7, vcc_lo, s50, v7, vcc_lo
	v_cmp_le_i32_e32 vcc_lo, s5, v3
	s_clause 0x1
	global_load_b32 v8, v[4:5], off
	global_load_b32 v9, v[6:7], off
	s_waitcnt vmcnt(1)
	global_store_b32 v[6:7], v8, off
	s_waitcnt vmcnt(0)
	global_store_b32 v[4:5], v9, off
	s_or_b32 s67, vcc_lo, s67
	s_delay_alu instid0(SALU_CYCLE_1)
	s_and_not1_b32 exec_lo, exec_lo, s67
	s_cbranch_execnz .LBB1_187
.LBB1_188:                              ;   in Loop: Header=BB1_6 Depth=1
	s_or_b32 exec_lo, exec_lo, s65
	s_sub_i32 s5, s18, s39
	s_mov_b32 s39, exec_lo
	v_cmpx_gt_i32_e64 s5, v0
	s_cbranch_execz .LBB1_191
; %bb.189:                              ;   in Loop: Header=BB1_6 Depth=1
	v_add3_u32 v1, s8, s38, v20
	v_mov_b32_e32 v3, v0
	s_ashr_i32 s38, s37, 31
	s_mov_b32 s65, 0
	s_delay_alu instid0(VALU_DEP_2)
	v_mul_lo_u32 v1, s18, v1
	.p2align	6
.LBB1_190:                              ;   Parent Loop BB1_6 Depth=1
                                        ; =>  This Inner Loop Header: Depth=2
	s_delay_alu instid0(VALU_DEP_1) | instskip(SKIP_3) | instid1(VALU_DEP_4)
	v_add_nc_u32_e32 v4, s6, v1
	v_ashrrev_i32_e32 v7, 31, v1
	v_add_co_u32 v6, vcc_lo, v1, s37
	v_add_nc_u32_e32 v3, 0x100, v3
	v_ashrrev_i32_e32 v5, 31, v4
	s_delay_alu instid0(VALU_DEP_4) | instskip(SKIP_1) | instid1(VALU_DEP_3)
	v_add_co_ci_u32_e32 v7, vcc_lo, s38, v7, vcc_lo
	v_add_nc_u32_e32 v1, s62, v1
	v_lshlrev_b64 v[4:5], 2, v[4:5]
	s_delay_alu instid0(VALU_DEP_3) | instskip(NEXT) | instid1(VALU_DEP_2)
	v_lshlrev_b64 v[6:7], 2, v[6:7]
	v_add_co_u32 v4, vcc_lo, s43, v4
	s_delay_alu instid0(VALU_DEP_3) | instskip(NEXT) | instid1(VALU_DEP_3)
	v_add_co_ci_u32_e32 v5, vcc_lo, s44, v5, vcc_lo
	v_add_co_u32 v6, vcc_lo, s51, v6
	s_delay_alu instid0(VALU_DEP_4)
	v_add_co_ci_u32_e32 v7, vcc_lo, s52, v7, vcc_lo
	v_cmp_le_i32_e32 vcc_lo, s5, v3
	s_clause 0x1
	global_load_b32 v8, v[4:5], off
	global_load_b32 v9, v[6:7], off
	s_waitcnt vmcnt(1)
	global_store_b32 v[6:7], v8, off
	s_waitcnt vmcnt(0)
	global_store_b32 v[4:5], v9, off
	s_or_b32 s65, vcc_lo, s65
	s_delay_alu instid0(SALU_CYCLE_1)
	s_and_not1_b32 exec_lo, exec_lo, s65
	s_cbranch_execnz .LBB1_190
.LBB1_191:                              ;   in Loop: Header=BB1_6 Depth=1
	s_or_b32 exec_lo, exec_lo, s39
	s_waitcnt_vscnt null, 0x0
	s_barrier
	buffer_gl0_inv
.LBB1_192:                              ;   in Loop: Header=BB1_6 Depth=1
	s_xor_b32 s5, s7, -1
                                        ; implicit-def: $sgpr7
	s_delay_alu instid0(SALU_CYCLE_1)
	s_and_b32 vcc_lo, exec_lo, s5
	s_mov_b32 s5, -1
	s_cbranch_vccnz .LBB1_196
; %bb.193:                              ;   in Loop: Header=BB1_6 Depth=1
	s_and_b32 vcc_lo, exec_lo, s5
	s_cbranch_vccnz .LBB1_204
.LBB1_194:                              ;   in Loop: Header=BB1_6 Depth=1
.LBB1_195:                              ;   in Loop: Header=BB1_6 Depth=1
	s_and_saveexec_b32 s36, s2
	s_cbranch_execz .LBB1_4
	s_branch .LBB1_213
.LBB1_196:                              ;   in Loop: Header=BB1_6 Depth=1
	s_cmp_lt_i32 s8, 2
	s_cbranch_scc1 .LBB1_201
; %bb.197:                              ;   in Loop: Header=BB1_6 Depth=1
	s_add_i32 s7, s8, -2
	s_mov_b32 s37, exec_lo
	v_cmpx_ge_i32_e64 s7, v0
	s_cbranch_execz .LBB1_200
; %bb.198:                              ;   in Loop: Header=BB1_6 Depth=1
	s_add_i32 s65, s8, -1
	s_ashr_i32 s5, s36, 31
	s_ashr_i32 s69, s8, 31
	s_add_u32 s38, s36, s8
	s_addc_u32 s39, s5, s69
	s_delay_alu instid0(SALU_CYCLE_1) | instskip(NEXT) | instid1(SALU_CYCLE_1)
	s_lshl_b64 s[38:39], s[38:39], 2
	s_add_u32 s38, s53, s38
	s_addc_u32 s39, s54, s39
	s_add_i32 s66, s36, s8
	s_delay_alu instid0(SALU_CYCLE_1) | instskip(NEXT) | instid1(SALU_CYCLE_1)
	s_ashr_i32 s67, s66, 31
	s_lshl_b64 s[66:67], s[66:67], 2
	s_delay_alu instid0(SALU_CYCLE_1) | instskip(SKIP_2) | instid1(SALU_CYCLE_1)
	s_add_u32 s66, s43, s66
	s_addc_u32 s67, s44, s67
	s_add_i32 s5, s64, -1
	s_mul_i32 s70, s5, s18
	s_delay_alu instid0(SALU_CYCLE_1) | instskip(SKIP_2) | instid1(SALU_CYCLE_1)
	s_ashr_i32 s5, s70, 31
	s_add_u32 s68, s70, s8
	s_addc_u32 s69, s5, s69
	s_lshl_b64 s[68:69], s[68:69], 2
	s_delay_alu instid0(SALU_CYCLE_1)
	s_add_u32 s68, s53, s68
	s_addc_u32 s69, s54, s69
	s_clause 0x2
	global_load_b32 v3, v2, s[38:39]
	global_load_b32 v1, v2, s[66:67]
	;; [unrolled: 1-line block ×3, first 2 shown]
	s_mov_b32 s38, 0
	s_waitcnt vmcnt(1)
	v_div_scale_f32 v5, null, v3, v3, v1
	s_waitcnt vmcnt(0)
	v_div_scale_f32 v6, null, v3, v3, v4
	v_div_scale_f32 v21, vcc_lo, v1, v3, v1
	s_delay_alu instid0(VALU_DEP_3) | instskip(NEXT) | instid1(VALU_DEP_2)
	v_rcp_f32_e32 v7, v5
	v_rcp_f32_e32 v8, v6
	s_waitcnt_depctr 0xfff
	v_fma_f32 v9, -v5, v7, 1.0
	v_fma_f32 v10, -v6, v8, 1.0
	s_delay_alu instid0(VALU_DEP_1) | instskip(SKIP_1) | instid1(VALU_DEP_2)
	v_dual_fmac_f32 v7, v9, v7 :: v_dual_fmac_f32 v8, v10, v8
	v_div_scale_f32 v9, s5, v4, v3, v4
	v_mul_f32_e32 v10, v21, v7
	s_delay_alu instid0(VALU_DEP_2) | instskip(NEXT) | instid1(VALU_DEP_2)
	v_mul_f32_e32 v22, v9, v8
	v_fma_f32 v23, -v5, v10, v21
	s_delay_alu instid0(VALU_DEP_2) | instskip(NEXT) | instid1(VALU_DEP_2)
	v_fma_f32 v24, -v6, v22, v9
	v_fmac_f32_e32 v10, v23, v7
	s_delay_alu instid0(VALU_DEP_2) | instskip(SKIP_1) | instid1(VALU_DEP_3)
	v_fmac_f32_e32 v22, v24, v8
	v_add_nc_u32_e32 v24, s70, v0
	v_fma_f32 v5, -v5, v10, v21
	s_delay_alu instid0(VALU_DEP_3) | instskip(NEXT) | instid1(VALU_DEP_3)
	v_fma_f32 v6, -v6, v22, v9
	v_ashrrev_i32_e32 v25, 31, v24
	s_delay_alu instid0(VALU_DEP_3) | instskip(SKIP_3) | instid1(VALU_DEP_3)
	v_div_fmas_f32 v5, v5, v7, v10
	s_mov_b32 vcc_lo, s5
	v_add_nc_u32_e32 v7, s36, v0
	v_div_fmas_f32 v6, v6, v8, v22
	v_div_fixup_f32 v1, v5, v3, v1
	s_delay_alu instid0(VALU_DEP_3) | instskip(NEXT) | instid1(VALU_DEP_3)
	v_ashrrev_i32_e32 v8, 31, v7
	v_div_fixup_f32 v21, v6, v3, v4
	s_delay_alu instid0(VALU_DEP_3) | instskip(NEXT) | instid1(VALU_DEP_3)
	v_mad_u64_u32 v[5:6], null, s65, s17, v[0:1]
	v_lshlrev_b64 v[7:8], 2, v[7:8]
	s_delay_alu instid0(VALU_DEP_3) | instskip(NEXT) | instid1(VALU_DEP_1)
	v_fma_f32 v4, v1, v21, -1.0
	v_mul_f32_e32 v26, v3, v4
	v_mad_u64_u32 v[3:4], null, s8, s17, v[0:1]
	v_ashrrev_i32_e32 v6, 31, v5
	s_delay_alu instid0(VALU_DEP_3) | instskip(SKIP_1) | instid1(VALU_DEP_3)
	v_div_scale_f32 v27, null, v26, v26, 1.0
	v_div_scale_f32 v29, vcc_lo, 1.0, v26, 1.0
	v_lshlrev_b64 v[22:23], 2, v[5:6]
	s_delay_alu instid0(VALU_DEP_3) | instskip(SKIP_2) | instid1(VALU_DEP_1)
	v_rcp_f32_e32 v28, v27
	s_waitcnt_depctr 0xfff
	v_fma_f32 v4, -v27, v28, 1.0
	v_fmac_f32_e32 v28, v4, v28
	v_ashrrev_i32_e32 v4, 31, v3
	s_delay_alu instid0(VALU_DEP_2) | instskip(NEXT) | instid1(VALU_DEP_2)
	v_mul_f32_e32 v30, v29, v28
	v_lshlrev_b64 v[9:10], 2, v[3:4]
	v_add_co_u32 v3, s5, s57, v7
	s_delay_alu instid0(VALU_DEP_1) | instskip(NEXT) | instid1(VALU_DEP_4)
	v_add_co_ci_u32_e64 v4, s5, s58, v8, s5
	v_fma_f32 v5, -v27, v30, v29
	s_delay_alu instid0(VALU_DEP_1) | instskip(SKIP_1) | instid1(VALU_DEP_1)
	v_fmac_f32_e32 v30, v5, v28
	v_add_co_u32 v5, s5, s59, v9
	v_add_co_ci_u32_e64 v6, s5, s60, v10, s5
	v_lshlrev_b64 v[9:10], 2, v[24:25]
	s_delay_alu instid0(VALU_DEP_4) | instskip(SKIP_1) | instid1(VALU_DEP_1)
	v_fma_f32 v24, -v27, v30, v29
	v_add_co_u32 v7, s5, s59, v22
	v_add_co_ci_u32_e64 v8, s5, s60, v23, s5
	v_mov_b32_e32 v23, v0
	s_delay_alu instid0(VALU_DEP_4) | instskip(SKIP_2) | instid1(VALU_DEP_3)
	v_div_fmas_f32 v22, v24, v28, v30
	v_add_co_u32 v9, vcc_lo, s57, v9
	v_add_co_ci_u32_e32 v10, vcc_lo, s58, v10, vcc_lo
	v_div_fixup_f32 v22, v22, v26, 1.0
	s_set_inst_prefetch_distance 0x1
	.p2align	6
.LBB1_199:                              ;   Parent Loop BB1_6 Depth=1
                                        ; =>  This Inner Loop Header: Depth=2
	global_load_b32 v24, v[9:10], off
	global_load_b32 v25, v[3:4], off
	v_add_nc_u32_e32 v23, 0x100, v23
	s_delay_alu instid0(VALU_DEP_1) | instskip(SKIP_3) | instid1(VALU_DEP_1)
	v_cmp_lt_i32_e32 vcc_lo, s7, v23
	s_or_b32 s38, vcc_lo, s38
	s_waitcnt vmcnt(0)
	v_fma_f32 v24, v1, v24, -v25
	v_mul_f32_e32 v24, v22, v24
	global_store_b32 v[7:8], v24, off
	global_load_b32 v24, v[3:4], off
	global_load_b32 v25, v[9:10], off
	v_add_co_u32 v7, s5, 0x400, v7
	s_delay_alu instid0(VALU_DEP_1) | instskip(SKIP_1) | instid1(VALU_DEP_1)
	v_add_co_ci_u32_e64 v8, s5, 0, v8, s5
	v_add_co_u32 v3, s5, 0x400, v3
	v_add_co_ci_u32_e64 v4, s5, 0, v4, s5
	v_add_co_u32 v9, s5, 0x400, v9
	s_delay_alu instid0(VALU_DEP_1) | instskip(SKIP_2) | instid1(VALU_DEP_1)
	v_add_co_ci_u32_e64 v10, s5, 0, v10, s5
	s_waitcnt vmcnt(0)
	v_fma_f32 v24, v21, v24, -v25
	v_mul_f32_e32 v24, v22, v24
	global_store_b32 v[5:6], v24, off
	v_add_co_u32 v5, s5, 0x400, v5
	s_delay_alu instid0(VALU_DEP_1)
	v_add_co_ci_u32_e64 v6, s5, 0, v6, s5
	s_and_not1_b32 exec_lo, exec_lo, s38
	s_cbranch_execnz .LBB1_199
.LBB1_200:                              ;   in Loop: Header=BB1_6 Depth=1
	s_set_inst_prefetch_distance 0x2
	s_or_b32 exec_lo, exec_lo, s37
.LBB1_201:                              ;   in Loop: Header=BB1_6 Depth=1
	s_and_saveexec_b32 s5, s2
	s_cbranch_execz .LBB1_203
; %bb.202:                              ;   in Loop: Header=BB1_6 Depth=1
	s_add_i32 s7, s64, -1
	s_add_i32 s37, s8, -1
	s_mul_i32 s7, s7, s18
	s_ashr_i32 s66, s8, 31
	s_ashr_i32 s39, s7, 31
	s_add_u32 s38, s7, s8
	s_addc_u32 s39, s39, s66
	s_delay_alu instid0(SALU_CYCLE_1) | instskip(NEXT) | instid1(SALU_CYCLE_1)
	s_lshl_b64 s[38:39], s[38:39], 2
	s_add_u32 s38, s53, s38
	s_addc_u32 s39, s54, s39
	global_load_b32 v1, v2, s[38:39]
	s_mul_i32 s38, s37, s47
	s_delay_alu instid0(SALU_CYCLE_1) | instskip(NEXT) | instid1(SALU_CYCLE_1)
	s_ashr_i32 s39, s38, 31
	s_lshl_b64 s[38:39], s[38:39], 2
	s_delay_alu instid0(SALU_CYCLE_1)
	s_add_u32 s38, s16, s38
	s_addc_u32 s39, s33, s39
	s_ashr_i32 s7, s36, 31
	s_add_u32 s64, s36, s8
	s_addc_u32 s65, s7, s66
	s_mul_i32 s7, s8, s17
	s_lshl_b64 s[64:65], s[64:65], 2
	s_delay_alu instid0(SALU_CYCLE_1)
	s_add_u32 s64, s53, s64
	s_addc_u32 s65, s54, s65
	s_ashr_i32 s37, s7, 31
	s_waitcnt vmcnt(0)
	global_store_b32 v2, v1, s[38:39]
	global_load_b32 v1, v2, s[64:65]
	s_add_u32 s38, s8, s7
	s_addc_u32 s39, s66, s37
	s_delay_alu instid0(SALU_CYCLE_1) | instskip(NEXT) | instid1(SALU_CYCLE_1)
	s_lshl_b64 s[38:39], s[38:39], 2
	s_add_u32 s38, s55, s38
	s_addc_u32 s39, s56, s39
	s_add_i32 s64, s36, s8
	s_delay_alu instid0(SALU_CYCLE_1) | instskip(NEXT) | instid1(SALU_CYCLE_1)
	s_ashr_i32 s65, s64, 31
	s_lshl_b64 s[64:65], s[64:65], 2
	s_delay_alu instid0(SALU_CYCLE_1)
	s_add_u32 s64, s43, s64
	s_addc_u32 s65, s44, s65
	s_waitcnt vmcnt(0)
	global_store_b32 v2, v1, s[38:39]
	global_load_b32 v1, v2, s[64:65]
	s_add_i32 s38, s7, s8
	s_delay_alu instid0(SALU_CYCLE_1) | instskip(NEXT) | instid1(SALU_CYCLE_1)
	s_ashr_i32 s39, s38, 31
	s_lshl_b64 s[38:39], s[38:39], 2
	s_delay_alu instid0(SALU_CYCLE_1)
	s_add_u32 s38, s16, s38
	s_addc_u32 s39, s33, s39
	s_waitcnt vmcnt(0)
	global_store_b32 v2, v1, s[38:39]
.LBB1_203:                              ;   in Loop: Header=BB1_6 Depth=1
	s_or_b32 exec_lo, exec_lo, s5
	s_mov_b32 s5, 0
	s_mov_b32 s7, -2
	s_waitcnt_vscnt null, 0x0
	s_barrier
	buffer_gl0_inv
	s_branch .LBB1_194
.LBB1_204:                              ;   in Loop: Header=BB1_6 Depth=1
	s_add_i32 s38, s36, s8
	s_delay_alu instid0(SALU_CYCLE_1) | instskip(NEXT) | instid1(SALU_CYCLE_1)
	s_ashr_i32 s39, s38, 31
	s_lshl_b64 s[38:39], s[38:39], 2
	s_delay_alu instid0(SALU_CYCLE_1)
	s_add_u32 s38, s43, s38
	s_addc_u32 s39, s44, s39
	global_load_b32 v1, v2, s[38:39]
	s_and_saveexec_b32 s5, s2
	s_cbranch_execz .LBB1_206
; %bb.205:                              ;   in Loop: Header=BB1_6 Depth=1
	s_mul_i32 s38, s8, s47
	s_delay_alu instid0(SALU_CYCLE_1) | instskip(NEXT) | instid1(SALU_CYCLE_1)
	s_ashr_i32 s39, s38, 31
	s_lshl_b64 s[38:39], s[38:39], 2
	s_delay_alu instid0(SALU_CYCLE_1)
	s_add_u32 s38, s16, s38
	s_addc_u32 s39, s33, s39
	s_waitcnt vmcnt(0)
	global_store_b32 v2, v1, s[38:39]
.LBB1_206:                              ;   in Loop: Header=BB1_6 Depth=1
	s_or_b32 exec_lo, exec_lo, s5
	s_and_saveexec_b32 s5, s4
	s_cbranch_execz .LBB1_209
; %bb.207:                              ;   in Loop: Header=BB1_6 Depth=1
	s_waitcnt vmcnt(0)
	v_div_scale_f32 v9, null, v1, v1, 1.0
	v_div_scale_f32 v21, vcc_lo, 1.0, v1, 1.0
	s_mov_b32 s7, 0
	s_delay_alu instid0(VALU_DEP_2) | instskip(SKIP_1) | instid1(VALU_DEP_1)
	v_rcp_f32_e32 v10, v9
	v_add_nc_u32_e32 v5, s36, v0
	v_ashrrev_i32_e32 v6, 31, v5
	s_waitcnt_depctr 0xfff
	v_fma_f32 v3, -v9, v10, 1.0
	v_lshlrev_b64 v[5:6], 2, v[5:6]
	s_delay_alu instid0(VALU_DEP_2) | instskip(SKIP_1) | instid1(VALU_DEP_2)
	v_fmac_f32_e32 v10, v3, v10
	v_mad_u64_u32 v[3:4], null, s8, s17, v[0:1]
	v_mul_f32_e32 v22, v21, v10
	s_delay_alu instid0(VALU_DEP_2) | instskip(NEXT) | instid1(VALU_DEP_2)
	v_ashrrev_i32_e32 v4, 31, v3
	v_fma_f32 v7, -v9, v22, v21
	s_delay_alu instid0(VALU_DEP_1) | instskip(NEXT) | instid1(VALU_DEP_3)
	v_fmac_f32_e32 v22, v7, v10
	v_lshlrev_b64 v[7:8], 2, v[3:4]
	v_add_co_u32 v3, s4, s57, v5
	s_delay_alu instid0(VALU_DEP_1) | instskip(NEXT) | instid1(VALU_DEP_4)
	v_add_co_ci_u32_e64 v4, s4, s58, v6, s4
	v_fma_f32 v9, -v9, v22, v21
	s_delay_alu instid0(VALU_DEP_1) | instskip(SKIP_3) | instid1(VALU_DEP_4)
	v_div_fmas_f32 v9, v9, v10, v22
	v_add_co_u32 v5, vcc_lo, s59, v7
	v_mov_b32_e32 v7, v0
	v_add_co_ci_u32_e32 v6, vcc_lo, s60, v8, vcc_lo
	v_div_fixup_f32 v1, v9, v1, 1.0
	.p2align	6
.LBB1_208:                              ;   Parent Loop BB1_6 Depth=1
                                        ; =>  This Inner Loop Header: Depth=2
	global_load_b32 v8, v[3:4], off
	v_add_nc_u32_e32 v7, 0x100, v7
	v_add_co_u32 v3, vcc_lo, 0x400, v3
	v_add_co_ci_u32_e32 v4, vcc_lo, 0, v4, vcc_lo
	s_waitcnt vmcnt(0)
	v_mul_f32_e32 v8, v1, v8
	v_cmp_le_i32_e32 vcc_lo, s8, v7
	global_store_b32 v[5:6], v8, off
	v_add_co_u32 v5, s4, 0x400, v5
	s_delay_alu instid0(VALU_DEP_1) | instskip(SKIP_1) | instid1(SALU_CYCLE_1)
	v_add_co_ci_u32_e64 v6, s4, 0, v6, s4
	s_or_b32 s7, vcc_lo, s7
	s_and_not1_b32 exec_lo, exec_lo, s7
	s_cbranch_execnz .LBB1_208
.LBB1_209:                              ;   in Loop: Header=BB1_6 Depth=1
	s_or_b32 exec_lo, exec_lo, s5
	s_mov_b32 s5, -1
	s_mov_b32 s7, -1
	s_waitcnt vmcnt(0)
	s_waitcnt_vscnt null, 0x0
	s_barrier
	buffer_gl0_inv
	s_branch .LBB1_195
.LBB1_210:                              ;   in Loop: Header=BB1_6 Depth=1
	ds_load_b32 v1, v2 offset:2052
	s_waitcnt lgkmcnt(0)
	v_readfirstlane_b32 s4, v1
	s_delay_alu instid0(VALU_DEP_1) | instskip(SKIP_1) | instid1(SALU_CYCLE_1)
	s_cmp_eq_u32 s4, 0
	s_cselect_b32 s4, -1, 0
	s_and_b32 s5, s2, s4
	s_delay_alu instid0(SALU_CYCLE_1)
	s_and_saveexec_b32 s4, s5
	s_cbranch_execz .LBB1_212
; %bb.211:                              ;   in Loop: Header=BB1_6 Depth=1
	s_add_i32 s5, s8, 1
	s_delay_alu instid0(SALU_CYCLE_1)
	v_mov_b32_e32 v1, s5
	ds_store_b32 v2, v1 offset:2052
.LBB1_212:                              ;   in Loop: Header=BB1_6 Depth=1
	s_or_b32 exec_lo, exec_lo, s4
	s_mov_b32 s7, -1
	s_mov_b32 s5, -1
	s_mov_b32 s6, s8
	s_and_saveexec_b32 s36, s2
	s_cbranch_execz .LBB1_4
.LBB1_213:                              ;   in Loop: Header=BB1_6 Depth=1
	s_lshl_b64 s[38:39], s[8:9], 2
	s_xor_b32 s37, s5, -1
	s_add_u32 s4, s40, s38
	s_addc_u32 s5, s41, s39
	s_and_b32 vcc_lo, exec_lo, s37
	s_mov_b32 s37, -1
	s_cbranch_vccz .LBB1_215
; %bb.214:                              ;   in Loop: Header=BB1_6 Depth=1
	s_not_b32 s37, s6
	s_delay_alu instid0(SALU_CYCLE_1)
	v_dual_mov_b32 v3, s37 :: v_dual_mov_b32 v4, s37
	s_mov_b32 s37, 0
	global_store_b64 v2, v[3:4], s[4:5] offset:-4
.LBB1_215:                              ;   in Loop: Header=BB1_6 Depth=1
	s_and_not1_b32 vcc_lo, exec_lo, s37
	s_cbranch_vccnz .LBB1_4
; %bb.216:                              ;   in Loop: Header=BB1_6 Depth=1
	s_add_i32 s6, s6, 1
	s_delay_alu instid0(SALU_CYCLE_1)
	v_mov_b32_e32 v1, s6
	global_store_b32 v2, v1, s[4:5]
	s_branch .LBB1_4
.LBB1_217:                              ;   in Loop: Header=BB1_6 Depth=1
	s_mov_b32 s7, 0
	s_mov_b32 s38, -2
	s_delay_alu instid0(SALU_CYCLE_1) | instskip(NEXT) | instid1(SALU_CYCLE_1)
	s_add_i32 s37, s38, s8
	s_add_i32 s39, s37, 1
	s_delay_alu instid0(SALU_CYCLE_1)
	s_cmp_eq_u32 s6, s39
	s_cbranch_scc0 .LBB1_177
	s_branch .LBB1_192
.LBB1_218:
	s_add_i32 s0, s64, 1
.LBB1_219:
	s_and_saveexec_b32 s1, s2
	s_cbranch_execz .LBB1_221
; %bb.220:
	v_mov_b32_e32 v1, 0
	s_lshl_b64 s[2:3], s[26:27], 2
	s_delay_alu instid0(SALU_CYCLE_1)
	s_add_u32 s4, s12, s2
	s_addc_u32 s5, s13, s3
	ds_load_b32 v2, v1 offset:2052
	s_add_u32 s2, s10, s2
	s_addc_u32 s3, s11, s3
	s_not_b32 s6, s8
	s_delay_alu instid0(SALU_CYCLE_1) | instskip(NEXT) | instid1(SALU_CYCLE_1)
	s_add_i32 s6, s6, s18
	v_mov_b32_e32 v3, s6
	global_store_b32 v1, v3, s[4:5]
	s_waitcnt lgkmcnt(0)
	global_store_b32 v1, v2, s[2:3]
.LBB1_221:
	s_or_b32 exec_lo, exec_lo, s1
	s_abs_i32 s1, s19
	s_abs_i32 s4, s8
	v_cvt_f32_u32_e32 v1, s1
	s_sub_i32 s3, 0, s1
	s_mov_b32 s5, 0
	s_delay_alu instid0(VALU_DEP_1) | instskip(SKIP_2) | instid1(VALU_DEP_1)
	v_rcp_iflag_f32_e32 v1, v1
	s_waitcnt_depctr 0xfff
	v_mul_f32_e32 v1, 0x4f7ffffe, v1
	v_cvt_u32_f32_e32 v1, v1
	s_delay_alu instid0(VALU_DEP_1) | instskip(NEXT) | instid1(VALU_DEP_1)
	v_readfirstlane_b32 s2, v1
	s_mul_i32 s3, s3, s2
	s_delay_alu instid0(SALU_CYCLE_1) | instskip(NEXT) | instid1(SALU_CYCLE_1)
	s_mul_hi_u32 s3, s2, s3
	s_add_i32 s2, s2, s3
	s_ashr_i32 s3, s8, 31
	s_mul_hi_u32 s2, s4, s2
	s_delay_alu instid0(SALU_CYCLE_1) | instskip(NEXT) | instid1(SALU_CYCLE_1)
	s_mul_i32 s2, s2, s1
	s_sub_i32 s2, s4, s2
	s_delay_alu instid0(SALU_CYCLE_1) | instskip(SKIP_2) | instid1(SALU_CYCLE_1)
	s_sub_i32 s4, s2, s1
	s_cmp_ge_u32 s2, s1
	s_cselect_b32 s2, s4, s2
	s_sub_i32 s4, s2, s1
	s_cmp_ge_u32 s2, s1
	s_cselect_b32 s1, s4, s2
	s_add_i32 s2, s8, 1
	s_xor_b32 s1, s1, s3
	s_delay_alu instid0(SALU_CYCLE_1) | instskip(NEXT) | instid1(SALU_CYCLE_1)
	s_sub_i32 s1, s3, s1
	s_add_i32 s4, s8, s1
	s_delay_alu instid0(SALU_CYCLE_1)
	s_cmp_lt_i32 s4, 0
	s_cbranch_scc1 .LBB1_239
; %bb.222:
	s_mul_i32 s0, s0, s18
	s_not_b32 s3, s8
	s_ashr_i32 s1, s0, 31
	s_mul_i32 s6, s2, s17
	s_lshl_b64 s[0:1], s[0:1], 2
	s_add_i32 s3, s3, s18
	s_ashr_i32 s7, s6, 31
	s_add_u32 s12, s43, s0
	s_addc_u32 s13, s44, s1
	s_cmp_gt_i32 s3, 0
	v_mov_b32_e32 v2, 0
	s_cselect_b32 s26, -1, 0
	s_lshl_b64 s[8:9], s[6:7], 2
	s_delay_alu instid0(SALU_CYCLE_1)
	s_add_u32 s27, s16, s8
	s_addc_u32 s30, s33, s9
	s_add_u32 s0, s28, s0
	s_addc_u32 s1, s29, s1
	;; [unrolled: 2-line block ×3, first 2 shown]
	s_ashr_i32 s1, s18, 31
	s_mov_b32 s0, s18
	s_delay_alu instid0(SALU_CYCLE_1)
	s_lshl_b64 s[6:7], s[0:1], 2
	s_add_u32 s0, s22, s24
	s_addc_u32 s1, s23, s25
	s_add_u32 s0, s0, s8
	s_addc_u32 s1, s1, s9
	;; [unrolled: 2-line block ×3, first 2 shown]
	v_add_co_u32 v9, s0, s0, v12
	s_delay_alu instid0(VALU_DEP_1) | instskip(SKIP_2) | instid1(SALU_CYCLE_1)
	v_add_co_ci_u32_e64 v10, null, s1, 0, s0
	s_ashr_i32 s1, s17, 31
	s_mov_b32 s0, s17
	s_lshl_b64 s[8:9], s[0:1], 2
	s_branch .LBB1_224
.LBB1_223:                              ;   in Loop: Header=BB1_224 Depth=1
	s_or_b32 exec_lo, exec_lo, s0
	s_sub_i32 s4, s4, s19
	s_delay_alu instid0(SALU_CYCLE_1)
	s_cmp_gt_i32 s4, -1
	s_cbranch_scc0 .LBB1_239
.LBB1_224:                              ; =>This Loop Header: Depth=1
                                        ;     Child Loop BB1_227 Depth 2
                                        ;       Child Loop BB1_230 Depth 3
                                        ;         Child Loop BB1_232 Depth 4
                                        ;     Child Loop BB1_236 Depth 2
                                        ;       Child Loop BB1_238 Depth 3
	s_sub_i32 s0, s2, s4
	s_delay_alu instid0(SALU_CYCLE_1) | instskip(NEXT) | instid1(SALU_CYCLE_1)
	s_min_i32 s14, s0, s19
	s_cmp_lt_i32 s14, 1
	s_cbranch_scc1 .LBB1_233
; %bb.225:                              ;   in Loop: Header=BB1_224 Depth=1
	s_lshl_b64 s[0:1], s[4:5], 2
	s_mov_b32 s24, s4
	v_add_co_u32 v3, vcc_lo, v9, s0
	s_add_u32 s10, s20, s0
	v_add_co_ci_u32_e32 v4, vcc_lo, s1, v10, vcc_lo
	s_addc_u32 s11, s21, s1
	s_add_i32 s15, s14, s4
	s_add_u32 s22, s16, s0
	s_addc_u32 s23, s33, s1
	s_branch .LBB1_227
.LBB1_226:                              ;   in Loop: Header=BB1_227 Depth=2
	s_set_inst_prefetch_distance 0x2
	s_or_b32 exec_lo, exec_lo, s28
	s_add_i32 s24, s24, 1
	s_add_u32 s10, s10, 4
	s_addc_u32 s11, s11, 0
	s_cmp_lt_i32 s24, s15
	s_cbranch_scc0 .LBB1_233
.LBB1_227:                              ;   Parent Loop BB1_224 Depth=1
                                        ; =>  This Loop Header: Depth=2
                                        ;       Child Loop BB1_230 Depth 3
                                        ;         Child Loop BB1_232 Depth 4
	s_sub_i32 s25, s24, s4
	s_mov_b32 s28, exec_lo
	v_cmpx_ge_i32_e64 s25, v0
	s_cbranch_execz .LBB1_226
; %bb.228:                              ;   in Loop: Header=BB1_227 Depth=2
	s_mul_i32 s0, s24, s17
	v_dual_mov_b32 v6, v4 :: v_dual_mov_b32 v5, v3
	s_ashr_i32 s1, s0, 31
	v_mov_b32_e32 v1, v0
	s_lshl_b64 s[0:1], s[0:1], 2
	s_mov_b32 s34, 0
	s_add_u32 s29, s22, s0
	s_addc_u32 s31, s23, s1
	s_set_inst_prefetch_distance 0x1
	s_branch .LBB1_230
	.p2align	6
.LBB1_229:                              ;   in Loop: Header=BB1_230 Depth=3
	v_lshlrev_b64 v[7:8], 2, v[1:2]
	v_add_co_u32 v5, s0, 0x400, v5
	s_delay_alu instid0(VALU_DEP_1) | instskip(NEXT) | instid1(VALU_DEP_3)
	v_add_co_ci_u32_e64 v6, s0, 0, v6, s0
	v_add_co_u32 v7, vcc_lo, s29, v7
	s_delay_alu instid0(VALU_DEP_4) | instskip(SKIP_3) | instid1(VALU_DEP_1)
	v_add_co_ci_u32_e32 v8, vcc_lo, s31, v8, vcc_lo
	global_load_b32 v13, v[7:8], off
	s_waitcnt vmcnt(0)
	v_dual_sub_f32 v12, v13, v12 :: v_dual_add_nc_u32 v1, 0x100, v1
	v_cmp_lt_i32_e32 vcc_lo, s25, v1
	global_store_b32 v[7:8], v12, off
	s_or_b32 s34, vcc_lo, s34
	s_delay_alu instid0(SALU_CYCLE_1)
	s_and_not1_b32 exec_lo, exec_lo, s34
	s_cbranch_execz .LBB1_226
.LBB1_230:                              ;   Parent Loop BB1_224 Depth=1
                                        ;     Parent Loop BB1_227 Depth=2
                                        ; =>    This Loop Header: Depth=3
                                        ;         Child Loop BB1_232 Depth 4
	v_mov_b32_e32 v12, 0
	s_and_not1_b32 vcc_lo, exec_lo, s26
	s_cbranch_vccnz .LBB1_229
; %bb.231:                              ;   in Loop: Header=BB1_230 Depth=3
	v_dual_mov_b32 v8, v6 :: v_dual_mov_b32 v7, v5
	s_mov_b64 s[0:1], s[10:11]
	s_mov_b32 s35, s3
.LBB1_232:                              ;   Parent Loop BB1_224 Depth=1
                                        ;     Parent Loop BB1_227 Depth=2
                                        ;       Parent Loop BB1_230 Depth=3
                                        ; =>      This Inner Loop Header: Depth=4
	global_load_b32 v13, v[7:8], off
	global_load_b32 v14, v2, s[0:1]
	v_add_co_u32 v7, vcc_lo, v7, s8
	s_add_i32 s35, s35, -1
	v_add_co_ci_u32_e32 v8, vcc_lo, s9, v8, vcc_lo
	s_add_u32 s0, s0, s6
	s_addc_u32 s1, s1, s7
	s_cmp_eq_u32 s35, 0
	s_waitcnt vmcnt(0)
	v_fmac_f32_e32 v12, v13, v14
	s_cbranch_scc0 .LBB1_232
	s_branch .LBB1_229
.LBB1_233:                              ;   in Loop: Header=BB1_224 Depth=1
	s_mul_i32 s14, s14, s4
	s_mov_b32 s0, exec_lo
	v_cmpx_gt_i32_e64 s14, v0
	s_cbranch_execz .LBB1_223
; %bb.234:                              ;   in Loop: Header=BB1_224 Depth=1
	s_lshl_b64 s[10:11], s[4:5], 2
	s_mul_i32 s22, s4, s17
	s_add_u32 s1, s12, s10
	s_addc_u32 s10, s13, s11
	s_ashr_i32 s23, s22, 31
	s_mov_b32 s24, 0
	s_lshl_b64 s[22:23], s[22:23], 2
	v_mov_b32_e32 v8, v0
	s_add_u32 s11, s16, s22
	s_addc_u32 s15, s33, s23
	s_abs_i32 s22, s4
	s_delay_alu instid0(SALU_CYCLE_1) | instskip(SKIP_1) | instid1(VALU_DEP_1)
	v_cvt_f32_u32_e32 v1, s22
	s_sub_i32 s23, 0, s22
	v_rcp_iflag_f32_e32 v1, v1
	s_waitcnt_depctr 0xfff
	v_mul_f32_e32 v1, 0x4f7ffffe, v1
	s_delay_alu instid0(VALU_DEP_1) | instskip(NEXT) | instid1(VALU_DEP_1)
	v_cvt_u32_f32_e32 v1, v1
	v_mul_lo_u32 v3, s23, v1
	s_ashr_i32 s23, s4, 31
	s_delay_alu instid0(VALU_DEP_1) | instskip(NEXT) | instid1(VALU_DEP_1)
	v_mul_hi_u32 v3, v1, v3
	v_add_nc_u32_e32 v7, v1, v3
	s_branch .LBB1_236
.LBB1_235:                              ;   in Loop: Header=BB1_236 Depth=2
	s_delay_alu instid0(VALU_DEP_1) | instskip(SKIP_1) | instid1(VALU_DEP_2)
	v_mad_u64_u32 v[3:4], null, v13, s17, v[1:2]
	v_add_nc_u32_e32 v8, 0x100, v8
	v_ashrrev_i32_e32 v4, 31, v3
	s_delay_alu instid0(VALU_DEP_1) | instskip(NEXT) | instid1(VALU_DEP_1)
	v_lshlrev_b64 v[3:4], 2, v[3:4]
	v_add_co_u32 v3, vcc_lo, s11, v3
	s_delay_alu instid0(VALU_DEP_2)
	v_add_co_ci_u32_e32 v4, vcc_lo, s15, v4, vcc_lo
	v_cmp_le_i32_e32 vcc_lo, s14, v8
	global_load_b32 v1, v[3:4], off
	s_or_b32 s24, vcc_lo, s24
	s_waitcnt vmcnt(0)
	v_sub_f32_e32 v1, v1, v12
	global_store_b32 v[3:4], v1, off
	s_and_not1_b32 exec_lo, exec_lo, s24
	s_cbranch_execz .LBB1_223
.LBB1_236:                              ;   Parent Loop BB1_224 Depth=1
                                        ; =>  This Loop Header: Depth=2
                                        ;       Child Loop BB1_238 Depth 3
	s_delay_alu instid0(VALU_DEP_1) | instskip(SKIP_1) | instid1(VALU_DEP_2)
	v_mul_hi_u32 v1, v8, v7
	v_mov_b32_e32 v12, 0
	v_mul_lo_u32 v3, v1, s22
	v_add_nc_u32_e32 v4, 1, v1
	s_delay_alu instid0(VALU_DEP_2) | instskip(NEXT) | instid1(VALU_DEP_1)
	v_sub_nc_u32_e32 v3, v8, v3
	v_subrev_nc_u32_e32 v5, s22, v3
	v_cmp_le_u32_e32 vcc_lo, s22, v3
	s_delay_alu instid0(VALU_DEP_4) | instskip(NEXT) | instid1(VALU_DEP_3)
	v_cndmask_b32_e32 v1, v1, v4, vcc_lo
	v_cndmask_b32_e32 v3, v3, v5, vcc_lo
	s_delay_alu instid0(VALU_DEP_2) | instskip(NEXT) | instid1(VALU_DEP_2)
	v_add_nc_u32_e32 v4, 1, v1
	v_cmp_le_u32_e32 vcc_lo, s22, v3
	s_delay_alu instid0(VALU_DEP_2) | instskip(SKIP_1) | instid1(VALU_DEP_1)
	v_cndmask_b32_e32 v1, v1, v4, vcc_lo
	s_and_not1_b32 vcc_lo, exec_lo, s26
	v_xor_b32_e32 v1, s23, v1
	s_delay_alu instid0(VALU_DEP_1) | instskip(NEXT) | instid1(VALU_DEP_1)
	v_subrev_nc_u32_e32 v13, s23, v1
	v_mul_lo_u32 v1, v13, s4
	s_delay_alu instid0(VALU_DEP_1)
	v_sub_nc_u32_e32 v1, v8, v1
	s_cbranch_vccnz .LBB1_235
; %bb.237:                              ;   in Loop: Header=BB1_236 Depth=2
	s_delay_alu instid0(VALU_DEP_1)
	v_mov_b32_e32 v3, v1
	v_mov_b32_e32 v5, v13
	s_mov_b32 s25, s3
	.p2align	6
.LBB1_238:                              ;   Parent Loop BB1_224 Depth=1
                                        ;     Parent Loop BB1_236 Depth=2
                                        ; =>    This Inner Loop Header: Depth=3
	s_delay_alu instid0(VALU_DEP_2) | instskip(NEXT) | instid1(VALU_DEP_2)
	v_ashrrev_i32_e32 v4, 31, v3
	v_ashrrev_i32_e32 v6, 31, v5
	s_add_i32 s25, s25, -1
	s_delay_alu instid0(SALU_CYCLE_1) | instskip(NEXT) | instid1(VALU_DEP_2)
	s_cmp_eq_u32 s25, 0
	v_lshlrev_b64 v[14:15], 2, v[3:4]
	s_delay_alu instid0(VALU_DEP_2) | instskip(SKIP_1) | instid1(VALU_DEP_3)
	v_lshlrev_b64 v[16:17], 2, v[5:6]
	v_add_nc_u32_e32 v3, s17, v3
	v_add_co_u32 v14, vcc_lo, s27, v14
	s_delay_alu instid0(VALU_DEP_4) | instskip(NEXT) | instid1(VALU_DEP_4)
	v_add_co_ci_u32_e32 v15, vcc_lo, s30, v15, vcc_lo
	v_add_co_u32 v16, vcc_lo, s1, v16
	v_add_co_ci_u32_e32 v17, vcc_lo, s10, v17, vcc_lo
	global_load_b32 v4, v[14:15], off
	global_load_b32 v6, v[16:17], off
	s_waitcnt vmcnt(0)
	v_dual_fmac_f32 v12, v4, v6 :: v_dual_add_nc_u32 v5, s18, v5
	s_cbranch_scc0 .LBB1_238
	s_branch .LBB1_235
.LBB1_239:
	s_cmp_ge_i32 s2, s42
	s_waitcnt lgkmcnt(0)
	s_waitcnt_vscnt null, 0x0
	s_barrier
	buffer_gl0_inv
	s_cbranch_scc1 .LBB1_247
; %bb.240:
	v_mov_b32_e32 v1, 0
	s_lshl_b32 s0, s17, 8
	s_branch .LBB1_243
.LBB1_241:                              ;   in Loop: Header=BB1_243 Depth=1
	s_or_b32 exec_lo, exec_lo, s5
	s_waitcnt_vscnt null, 0x0
	s_barrier
	buffer_gl0_inv
.LBB1_242:                              ;   in Loop: Header=BB1_243 Depth=1
	s_cmp_lt_i32 s1, s42
	s_mov_b32 s2, s1
	s_cbranch_scc0 .LBB1_247
.LBB1_243:                              ; =>This Loop Header: Depth=1
                                        ;     Child Loop BB1_246 Depth 2
	s_ashr_i32 s3, s2, 31
	s_delay_alu instid0(SALU_CYCLE_1) | instskip(NEXT) | instid1(SALU_CYCLE_1)
	s_lshl_b64 s[4:5], s[2:3], 2
	s_add_u32 s4, s40, s4
	s_addc_u32 s5, s41, s5
	global_load_b32 v2, v1, s[4:5]
	s_waitcnt vmcnt(0)
	v_readfirstlane_b32 s1, v2
	s_delay_alu instid0(VALU_DEP_1) | instskip(SKIP_4) | instid1(SALU_CYCLE_1)
	s_not_b32 s3, s1
	s_add_i32 s4, s1, -1
	s_cmp_lt_i32 s1, 0
	s_cselect_b32 s3, s3, s4
	s_lshr_b32 s6, s1, 31
	s_add_i32 s1, s2, s6
	s_delay_alu instid0(SALU_CYCLE_1) | instskip(SKIP_4) | instid1(SALU_CYCLE_1)
	s_add_i32 s1, s1, 1
	s_cmp_eq_u32 s3, s2
	s_cselect_b32 s4, -1, 0
	s_cmp_le_i32 s18, s1
	s_cselect_b32 s5, -1, 0
	s_or_b32 s4, s4, s5
	s_delay_alu instid0(SALU_CYCLE_1)
	s_and_b32 vcc_lo, exec_lo, s4
	s_cbranch_vccnz .LBB1_242
; %bb.244:                              ;   in Loop: Header=BB1_243 Depth=1
	s_sub_i32 s4, s18, s1
	s_mov_b32 s5, exec_lo
	v_cmpx_gt_i32_e64 s4, v0
	s_cbranch_execz .LBB1_241
; %bb.245:                              ;   in Loop: Header=BB1_243 Depth=1
	v_add3_u32 v2, s6, s2, v11
	v_mov_b32_e32 v3, v0
	s_mov_b32 s6, 0
	s_delay_alu instid0(VALU_DEP_2)
	v_mul_lo_u32 v2, s17, v2
	.p2align	6
.LBB1_246:                              ;   Parent Loop BB1_243 Depth=1
                                        ; =>  This Inner Loop Header: Depth=2
	s_delay_alu instid0(VALU_DEP_1) | instskip(SKIP_3) | instid1(VALU_DEP_4)
	v_add_nc_u32_e32 v4, s2, v2
	v_add_nc_u32_e32 v6, s3, v2
	;; [unrolled: 1-line block ×4, first 2 shown]
	v_ashrrev_i32_e32 v5, 31, v4
	s_delay_alu instid0(VALU_DEP_4) | instskip(NEXT) | instid1(VALU_DEP_2)
	v_ashrrev_i32_e32 v7, 31, v6
	v_lshlrev_b64 v[4:5], 2, v[4:5]
	s_delay_alu instid0(VALU_DEP_2) | instskip(NEXT) | instid1(VALU_DEP_2)
	v_lshlrev_b64 v[6:7], 2, v[6:7]
	v_add_co_u32 v4, vcc_lo, s16, v4
	s_delay_alu instid0(VALU_DEP_3) | instskip(NEXT) | instid1(VALU_DEP_3)
	v_add_co_ci_u32_e32 v5, vcc_lo, s33, v5, vcc_lo
	v_add_co_u32 v6, vcc_lo, s16, v6
	s_delay_alu instid0(VALU_DEP_4)
	v_add_co_ci_u32_e32 v7, vcc_lo, s33, v7, vcc_lo
	v_cmp_le_i32_e32 vcc_lo, s4, v3
	s_clause 0x1
	global_load_b32 v8, v[4:5], off
	global_load_b32 v9, v[6:7], off
	s_waitcnt vmcnt(1)
	global_store_b32 v[6:7], v8, off
	s_waitcnt vmcnt(0)
	global_store_b32 v[4:5], v9, off
	s_or_b32 s6, vcc_lo, s6
	s_delay_alu instid0(SALU_CYCLE_1)
	s_and_not1_b32 exec_lo, exec_lo, s6
	s_cbranch_execnz .LBB1_246
	s_branch .LBB1_241
.LBB1_247:
	s_endpgm
	.section	.rodata,"a",@progbits
	.p2align	6, 0x0
	.amdhsa_kernel _ZN9rocsolver6v33100L18lasyf_kernel_upperIfPfEEviiPiT0_iilS3_lS3_PT_
		.amdhsa_group_segment_fixed_size 2068
		.amdhsa_private_segment_fixed_size 0
		.amdhsa_kernarg_size 72
		.amdhsa_user_sgpr_count 14
		.amdhsa_user_sgpr_dispatch_ptr 0
		.amdhsa_user_sgpr_queue_ptr 0
		.amdhsa_user_sgpr_kernarg_segment_ptr 1
		.amdhsa_user_sgpr_dispatch_id 0
		.amdhsa_user_sgpr_private_segment_size 0
		.amdhsa_wavefront_size32 1
		.amdhsa_uses_dynamic_stack 0
		.amdhsa_enable_private_segment 0
		.amdhsa_system_sgpr_workgroup_id_x 1
		.amdhsa_system_sgpr_workgroup_id_y 1
		.amdhsa_system_sgpr_workgroup_id_z 0
		.amdhsa_system_sgpr_workgroup_info 0
		.amdhsa_system_vgpr_workitem_id 0
		.amdhsa_next_free_vgpr 31
		.amdhsa_next_free_sgpr 72
		.amdhsa_reserve_vcc 1
		.amdhsa_float_round_mode_32 0
		.amdhsa_float_round_mode_16_64 0
		.amdhsa_float_denorm_mode_32 3
		.amdhsa_float_denorm_mode_16_64 3
		.amdhsa_dx10_clamp 1
		.amdhsa_ieee_mode 1
		.amdhsa_fp16_overflow 0
		.amdhsa_workgroup_processor_mode 1
		.amdhsa_memory_ordered 1
		.amdhsa_forward_progress 0
		.amdhsa_shared_vgpr_count 0
		.amdhsa_exception_fp_ieee_invalid_op 0
		.amdhsa_exception_fp_denorm_src 0
		.amdhsa_exception_fp_ieee_div_zero 0
		.amdhsa_exception_fp_ieee_overflow 0
		.amdhsa_exception_fp_ieee_underflow 0
		.amdhsa_exception_fp_ieee_inexact 0
		.amdhsa_exception_int_div_zero 0
	.end_amdhsa_kernel
	.section	.text._ZN9rocsolver6v33100L18lasyf_kernel_upperIfPfEEviiPiT0_iilS3_lS3_PT_,"axG",@progbits,_ZN9rocsolver6v33100L18lasyf_kernel_upperIfPfEEviiPiT0_iilS3_lS3_PT_,comdat
.Lfunc_end1:
	.size	_ZN9rocsolver6v33100L18lasyf_kernel_upperIfPfEEviiPiT0_iilS3_lS3_PT_, .Lfunc_end1-_ZN9rocsolver6v33100L18lasyf_kernel_upperIfPfEEviiPiT0_iilS3_lS3_PT_
                                        ; -- End function
	.section	.AMDGPU.csdata,"",@progbits
; Kernel info:
; codeLenInByte = 10968
; NumSgprs: 74
; NumVgprs: 31
; ScratchSize: 0
; MemoryBound: 0
; FloatMode: 240
; IeeeMode: 1
; LDSByteSize: 2068 bytes/workgroup (compile time only)
; SGPRBlocks: 9
; VGPRBlocks: 3
; NumSGPRsForWavesPerEU: 74
; NumVGPRsForWavesPerEU: 31
; Occupancy: 16
; WaveLimiterHint : 1
; COMPUTE_PGM_RSRC2:SCRATCH_EN: 0
; COMPUTE_PGM_RSRC2:USER_SGPR: 14
; COMPUTE_PGM_RSRC2:TRAP_HANDLER: 0
; COMPUTE_PGM_RSRC2:TGID_X_EN: 1
; COMPUTE_PGM_RSRC2:TGID_Y_EN: 1
; COMPUTE_PGM_RSRC2:TGID_Z_EN: 0
; COMPUTE_PGM_RSRC2:TIDIG_COMP_CNT: 0
	.section	.text._ZN9rocsolver6v33100L18lasyf_kernel_lowerIfPfEEviiPiT0_iilS3_lS3_PT_,"axG",@progbits,_ZN9rocsolver6v33100L18lasyf_kernel_lowerIfPfEEviiPiT0_iilS3_lS3_PT_,comdat
	.globl	_ZN9rocsolver6v33100L18lasyf_kernel_lowerIfPfEEviiPiT0_iilS3_lS3_PT_ ; -- Begin function _ZN9rocsolver6v33100L18lasyf_kernel_lowerIfPfEEviiPiT0_iilS3_lS3_PT_
	.p2align	8
	.type	_ZN9rocsolver6v33100L18lasyf_kernel_lowerIfPfEEviiPiT0_iilS3_lS3_PT_,@function
_ZN9rocsolver6v33100L18lasyf_kernel_lowerIfPfEEviiPiT0_iilS3_lS3_PT_: ; @_ZN9rocsolver6v33100L18lasyf_kernel_lowerIfPfEEviiPiT0_iilS3_lS3_PT_
; %bb.0:
	v_cmp_eq_u32_e64 s2, 0, v0
	s_mov_b32 s22, s15
	s_delay_alu instid0(VALU_DEP_1)
	s_and_saveexec_b32 s3, s2
	s_cbranch_execz .LBB2_2
; %bb.1:
	v_mov_b32_e32 v1, 0
	ds_store_b32 v1, v1 offset:2052
.LBB2_2:
	s_or_b32 exec_lo, exec_lo, s3
	s_clause 0x4
	s_load_b64 s[16:17], s[0:1], 0x18
	s_load_b256 s[4:11], s[0:1], 0x20
	s_load_b64 s[18:19], s[0:1], 0x0
	s_load_b128 s[12:15], s[0:1], 0x8
	s_load_b64 s[24:25], s[0:1], 0x40
	s_ashr_i32 s23, s22, 31
	v_lshlrev_b32_e32 v20, 2, v0
	s_waitcnt lgkmcnt(0)
	s_ashr_i32 s1, s16, 31
	s_mul_i32 s3, s22, s5
	s_mul_hi_u32 s5, s22, s4
	s_mov_b32 s0, s16
	s_mul_i32 s16, s23, s4
	s_add_i32 s3, s5, s3
	s_mul_i32 s4, s22, s4
	s_add_i32 s5, s3, s16
	s_mul_i32 s3, s22, s18
	s_lshl_b64 s[26:27], s[4:5], 2
	s_mul_i32 s4, s22, s9
	s_add_u32 s5, s14, s26
	s_addc_u32 s9, s15, s27
	s_lshl_b64 s[28:29], s[0:1], 2
	s_mul_i32 s0, s3, s19
	s_add_u32 s16, s5, s28
	s_addc_u32 s33, s9, s29
	s_ashr_i32 s1, s0, 31
	s_mul_hi_u32 s3, s22, s8
	s_lshl_b64 s[30:31], s[0:1], 2
	s_mul_i32 s1, s23, s8
	s_add_u32 s20, s24, s30
	s_addc_u32 s21, s25, s31
	s_add_i32 s3, s3, s4
	s_mul_i32 s0, s22, s8
	s_add_i32 s1, s3, s1
	v_mul_lo_u32 v22, v0, s17
	s_lshl_b64 s[0:1], s[0:1], 2
	s_delay_alu instid0(SALU_CYCLE_1)
	s_add_u32 s40, s6, s0
	s_addc_u32 s41, s7, s1
	s_cmp_lt_i32 s18, 1
	s_cbranch_scc1 .LBB2_248
; %bb.3:
	s_add_i32 s42, s19, -1
	s_cmp_eq_u32 s19, s18
	v_mul_lo_u32 v26, v0, s18
	s_cselect_b32 s43, -1, 0
	s_add_i32 s44, s18, -1
	s_add_i32 s45, s17, 1
	s_add_i32 s46, s18, -2
	s_add_i32 s47, s18, 1
	s_add_u32 s48, s16, -4
	s_addc_u32 s49, s33, -1
	s_add_u32 s50, s24, s30
	s_addc_u32 s51, s25, s31
	s_add_u32 s4, s26, s28
	s_addc_u32 s5, s27, s29
	s_add_u32 s52, s14, s4
	v_add_co_u32 v27, s6, s50, v20
	v_add_nc_u32_e32 v23, 2, v0
	s_addc_u32 s53, s15, s5
	v_add_co_u32 v24, s4, s52, v20
	v_add_co_ci_u32_e64 v28, null, s51, 0, s6
	v_add_co_ci_u32_e64 v25, null, s53, 0, s4
	s_ashr_i32 s5, s17, 31
	s_mov_b32 s4, s17
	v_mul_lo_u32 v31, v0, s17
	v_add_co_u32 v29, vcc_lo, v27, 4
	s_lshl_b64 s[36:37], s[4:5], 2
	s_lshl_b32 s4, s18, 8
	v_or_b32_e32 v21, 0x400, v20
	v_cmp_gt_u32_e64 s0, 0x80, v0
	v_cmp_gt_u32_e64 s1, 64, v0
	;; [unrolled: 1-line block ×3, first 2 shown]
	v_mov_b32_e32 v1, 0
	v_add_co_ci_u32_e32 v30, vcc_lo, 0, v28, vcc_lo
	v_ashrrev_i32_e32 v32, 31, v26
	v_add_nc_u32_e32 v33, s17, v23
	v_mov_b32_e32 v3, 0
	s_mov_b32 s9, 0
	s_mov_b32 s8, s18
	s_ashr_i32 s5, s4, 31
	s_lshl_b64 s[34:35], s[8:9], 2
	s_lshl_b32 s8, s17, 8
	s_lshl_b64 s[38:39], s[4:5], 2
                                        ; implicit-def: $sgpr54
	s_branch .LBB2_6
.LBB2_4:                                ;   in Loop: Header=BB2_6 Depth=1
	s_or_b32 exec_lo, exec_lo, s4
	v_add_nc_u32_e32 v1, v7, v1
	s_and_not1_b32 s4, s54, exec_lo
	s_delay_alu instid0(VALU_DEP_1) | instskip(SKIP_1) | instid1(SALU_CYCLE_1)
	v_cmp_le_i32_e32 vcc_lo, s18, v1
	s_and_b32 s5, vcc_lo, exec_lo
	s_or_b32 s54, s4, s5
.LBB2_5:                                ;   in Loop: Header=BB2_6 Depth=1
	s_or_b32 exec_lo, exec_lo, s55
	s_delay_alu instid0(SALU_CYCLE_1) | instskip(NEXT) | instid1(SALU_CYCLE_1)
	s_and_b32 s4, exec_lo, s54
	s_or_b32 s9, s4, s9
	s_delay_alu instid0(SALU_CYCLE_1)
	s_and_not1_b32 exec_lo, exec_lo, s9
	s_cbranch_execz .LBB2_216
.LBB2_6:                                ; =>This Loop Header: Depth=1
                                        ;     Child Loop BB2_11 Depth 2
                                        ;     Child Loop BB2_16 Depth 2
                                        ;       Child Loop BB2_18 Depth 3
                                        ;     Child Loop BB2_22 Depth 2
                                        ;     Child Loop BB2_66 Depth 2
	;; [unrolled: 1-line block ×4, first 2 shown]
                                        ;       Child Loop BB2_78 Depth 3
                                        ;     Child Loop BB2_83 Depth 2
                                        ;     Child Loop BB2_126 Depth 2
	;; [unrolled: 1-line block ×9, first 2 shown]
	v_cmp_gt_i32_e32 vcc_lo, s42, v1
	s_or_b32 s54, s54, exec_lo
	s_or_b32 s4, s43, vcc_lo
	s_delay_alu instid0(SALU_CYCLE_1)
	s_and_saveexec_b32 s55, s4
	s_cbranch_execz .LBB2_5
; %bb.7:                                ;   in Loop: Header=BB2_6 Depth=1
	v_sub_nc_u32_e32 v36, s18, v1
	v_mul_lo_u32 v6, v1, s18
	s_mov_b32 s4, exec_lo
	s_delay_alu instid0(VALU_DEP_2)
	v_cmp_gt_i32_e64 s5, v36, v0
	v_cmpx_le_i32_e64 v36, v0
	s_xor_b32 s4, exec_lo, s4
; %bb.8:                                ;   in Loop: Header=BB2_6 Depth=1
	v_mul_lo_u32 v6, v1, s18
; %bb.9:                                ;   in Loop: Header=BB2_6 Depth=1
	s_and_not1_saveexec_b32 s6, s4
	s_cbranch_execz .LBB2_13
; %bb.10:                               ;   in Loop: Header=BB2_6 Depth=1
	v_mad_u64_u32 v[4:5], null, s45, v1, v[0:1]
	v_mad_u64_u32 v[7:8], null, s47, v1, v[0:1]
	v_mov_b32_e32 v8, v3
	v_mov_b32_e32 v2, v0
	s_mov_b32 s7, 0
	s_delay_alu instid0(VALU_DEP_4) | instskip(NEXT) | instid1(VALU_DEP_3)
	v_ashrrev_i32_e32 v5, 31, v4
	v_lshlrev_b64 v[7:8], 2, v[7:8]
	s_delay_alu instid0(VALU_DEP_2) | instskip(NEXT) | instid1(VALU_DEP_2)
	v_lshlrev_b64 v[9:10], 2, v[4:5]
	v_add_co_u32 v4, vcc_lo, s50, v7
	s_delay_alu instid0(VALU_DEP_3) | instskip(NEXT) | instid1(VALU_DEP_3)
	v_add_co_ci_u32_e32 v5, vcc_lo, s51, v8, vcc_lo
	v_add_co_u32 v7, vcc_lo, s52, v9
	s_delay_alu instid0(VALU_DEP_4)
	v_add_co_ci_u32_e32 v8, vcc_lo, s53, v10, vcc_lo
	.p2align	6
.LBB2_11:                               ;   Parent Loop BB2_6 Depth=1
                                        ; =>  This Inner Loop Header: Depth=2
	global_load_b32 v9, v[7:8], off
	v_add_nc_u32_e32 v2, 0x100, v2
	v_add_co_u32 v7, vcc_lo, 0x400, v7
	v_add_co_ci_u32_e32 v8, vcc_lo, 0, v8, vcc_lo
	s_delay_alu instid0(VALU_DEP_3) | instskip(SKIP_4) | instid1(VALU_DEP_1)
	v_cmp_ge_i32_e32 vcc_lo, v2, v36
	s_or_b32 s7, vcc_lo, s7
	s_waitcnt vmcnt(0)
	global_store_b32 v[4:5], v9, off
	v_add_co_u32 v4, s4, 0x400, v4
	v_add_co_ci_u32_e64 v5, s4, 0, v5, s4
	s_and_not1_b32 exec_lo, exec_lo, s7
	s_cbranch_execnz .LBB2_11
; %bb.12:                               ;   in Loop: Header=BB2_6 Depth=1
	s_or_b32 exec_lo, exec_lo, s7
.LBB2_13:                               ;   in Loop: Header=BB2_6 Depth=1
	s_delay_alu instid0(SALU_CYCLE_1) | instskip(SKIP_1) | instid1(VALU_DEP_2)
	s_or_b32 exec_lo, exec_lo, s6
	v_mov_b32_e32 v2, v3
	v_ashrrev_i32_e32 v7, 31, v6
	s_waitcnt_vscnt null, 0x0
	s_waitcnt lgkmcnt(0)
	s_barrier
	buffer_gl0_inv
	v_lshlrev_b64 v[4:5], 2, v[1:2]
	v_lshlrev_b64 v[10:11], 2, v[6:7]
	s_delay_alu instid0(VALU_DEP_2) | instskip(NEXT) | instid1(VALU_DEP_3)
	v_add_co_u32 v12, vcc_lo, s20, v4
	v_add_co_ci_u32_e32 v13, vcc_lo, s21, v5, vcc_lo
	s_delay_alu instid0(VALU_DEP_2) | instskip(NEXT) | instid1(VALU_DEP_2)
	v_add_co_u32 v8, vcc_lo, v12, v10
	v_add_co_ci_u32_e32 v9, vcc_lo, v13, v11, vcc_lo
	s_and_saveexec_b32 s7, s5
	s_cbranch_execz .LBB2_20
; %bb.14:                               ;   in Loop: Header=BB2_6 Depth=1
	v_add_co_u32 v14, s4, v24, v4
	v_cmp_ne_u32_e32 vcc_lo, 0, v1
	v_add_co_ci_u32_e64 v15, s4, v25, v5, s4
	v_mov_b32_e32 v2, v0
	s_mov_b32 s56, 0
	s_branch .LBB2_16
.LBB2_15:                               ;   in Loop: Header=BB2_16 Depth=2
	s_or_b32 exec_lo, exec_lo, s57
	v_lshlrev_b64 v[16:17], 2, v[2:3]
	v_add_co_u32 v14, s6, 0x400, v14
	s_delay_alu instid0(VALU_DEP_1) | instskip(NEXT) | instid1(VALU_DEP_3)
	v_add_co_ci_u32_e64 v15, s6, 0, v15, s6
	v_add_co_u32 v16, s4, v8, v16
	s_delay_alu instid0(VALU_DEP_1) | instskip(SKIP_3) | instid1(VALU_DEP_1)
	v_add_co_ci_u32_e64 v17, s4, v9, v17, s4
	global_load_b32 v18, v[16:17], off
	s_waitcnt vmcnt(0)
	v_dual_sub_f32 v7, v18, v7 :: v_dual_add_nc_u32 v2, 0x100, v2
	v_cmp_ge_i32_e64 s4, v2, v36
	global_store_b32 v[16:17], v7, off
	s_or_b32 s56, s4, s56
	s_delay_alu instid0(SALU_CYCLE_1)
	s_and_not1_b32 exec_lo, exec_lo, s56
	s_cbranch_execz .LBB2_20
.LBB2_16:                               ;   Parent Loop BB2_6 Depth=1
                                        ; =>  This Loop Header: Depth=2
                                        ;       Child Loop BB2_18 Depth 3
	v_mov_b32_e32 v7, 0
	s_and_saveexec_b32 s57, vcc_lo
	s_cbranch_execz .LBB2_15
; %bb.17:                               ;   in Loop: Header=BB2_16 Depth=2
	v_mov_b32_e32 v17, v15
	v_dual_mov_b32 v19, v13 :: v_dual_mov_b32 v18, v12
	v_dual_mov_b32 v7, 0 :: v_dual_mov_b32 v16, v14
	v_mov_b32_e32 v34, v1
	s_mov_b32 s58, 0
	.p2align	6
.LBB2_18:                               ;   Parent Loop BB2_6 Depth=1
                                        ;     Parent Loop BB2_16 Depth=2
                                        ; =>    This Inner Loop Header: Depth=3
	global_load_b32 v35, v[16:17], off
	global_load_b32 v37, v[18:19], off
	v_add_nc_u32_e32 v34, -1, v34
	v_add_co_u32 v18, s4, v18, s34
	s_delay_alu instid0(VALU_DEP_1) | instskip(SKIP_1) | instid1(VALU_DEP_1)
	v_add_co_ci_u32_e64 v19, s4, s35, v19, s4
	v_add_co_u32 v16, s4, v16, s36
	v_add_co_ci_u32_e64 v17, s4, s37, v17, s4
	s_waitcnt vmcnt(0)
	v_fmac_f32_e32 v7, v35, v37
	v_cmp_eq_u32_e64 s6, 0, v34
	s_delay_alu instid0(VALU_DEP_1) | instskip(NEXT) | instid1(SALU_CYCLE_1)
	s_or_b32 s58, s6, s58
	s_and_not1_b32 exec_lo, exec_lo, s58
	s_cbranch_execnz .LBB2_18
; %bb.19:                               ;   in Loop: Header=BB2_16 Depth=2
	s_or_b32 exec_lo, exec_lo, s58
	s_branch .LBB2_15
.LBB2_20:                               ;   in Loop: Header=BB2_6 Depth=1
	s_or_b32 exec_lo, exec_lo, s7
	v_add_nc_u32_e32 v34, -1, v36
	v_bfrev_b32_e32 v7, -2
	v_mov_b32_e32 v2, 0
	s_waitcnt_vscnt null, 0x0
	s_barrier
	v_cmp_gt_i32_e64 s4, v34, v0
	buffer_gl0_inv
	s_and_saveexec_b32 s7, s4
	s_cbranch_execz .LBB2_24
; %bb.21:                               ;   in Loop: Header=BB2_6 Depth=1
	v_add_co_u32 v2, vcc_lo, v10, v4
	v_add_co_ci_u32_e32 v7, vcc_lo, v11, v5, vcc_lo
	v_mov_b32_e32 v14, v0
	s_delay_alu instid0(VALU_DEP_3) | instskip(NEXT) | instid1(VALU_DEP_3)
	v_add_co_u32 v10, vcc_lo, v29, v2
	v_add_co_ci_u32_e32 v11, vcc_lo, v30, v7, vcc_lo
	v_bfrev_b32_e32 v7, -2
	v_mov_b32_e32 v2, 0
	s_mov_b32 s56, 0
	.p2align	6
.LBB2_22:                               ;   Parent Loop BB2_6 Depth=1
                                        ; =>  This Inner Loop Header: Depth=2
	global_load_b32 v15, v[10:11], off
	v_cmp_eq_u32_e32 vcc_lo, 0x7fffffff, v7
	v_add_nc_u32_e32 v16, 1, v14
	v_add_co_u32 v10, s6, 0x400, v10
	s_delay_alu instid0(VALU_DEP_1) | instskip(SKIP_2) | instid1(VALU_DEP_1)
	v_add_co_ci_u32_e64 v11, s6, 0, v11, s6
	s_waitcnt vmcnt(0)
	v_cmp_lt_f32_e64 s57, v2, |v15|
	s_or_b32 vcc_lo, s57, vcc_lo
	v_dual_cndmask_b32 v7, v7, v16 :: v_dual_add_nc_u32 v14, 0x100, v14
	v_cndmask_b32_e64 v2, v2, |v15|, vcc_lo
	s_delay_alu instid0(VALU_DEP_2) | instskip(NEXT) | instid1(VALU_DEP_1)
	v_cmp_ge_i32_e64 s6, v14, v34
	s_or_b32 s56, s6, s56
	s_delay_alu instid0(SALU_CYCLE_1)
	s_and_not1_b32 exec_lo, exec_lo, s56
	s_cbranch_execnz .LBB2_22
; %bb.23:                               ;   in Loop: Header=BB2_6 Depth=1
	s_or_b32 exec_lo, exec_lo, s56
.LBB2_24:                               ;   in Loop: Header=BB2_6 Depth=1
	s_delay_alu instid0(SALU_CYCLE_1) | instskip(NEXT) | instid1(SALU_CYCLE_1)
	s_or_b32 exec_lo, exec_lo, s7
	s_mov_b32 s56, exec_lo
	ds_store_b32 v21, v2
	ds_store_b32 v20, v7
	s_waitcnt lgkmcnt(0)
	s_barrier
	buffer_gl0_inv
	v_cmpx_lt_i32_e32 2, v36
	s_cbranch_execz .LBB2_60
; %bb.25:                               ;   in Loop: Header=BB2_6 Depth=1
	s_and_saveexec_b32 s7, s0
	s_cbranch_execz .LBB2_31
; %bb.26:                               ;   in Loop: Header=BB2_6 Depth=1
	ds_load_b32 v10, v21 offset:512
	ds_load_b32 v11, v20 offset:512
	s_mov_b32 s58, exec_lo
	s_waitcnt lgkmcnt(1)
	v_cmp_lt_f32_e64 s57, v2, v10
	v_cmpx_nlt_f32_e32 v2, v10
	s_cbranch_execz .LBB2_28
; %bb.27:                               ;   in Loop: Header=BB2_6 Depth=1
	v_cmp_eq_f32_e32 vcc_lo, v2, v10
	s_waitcnt lgkmcnt(0)
	v_cmp_gt_i32_e64 s6, v7, v11
	s_and_not1_b32 s57, s57, exec_lo
	s_delay_alu instid0(VALU_DEP_1) | instskip(NEXT) | instid1(SALU_CYCLE_1)
	s_and_b32 s6, vcc_lo, s6
	s_and_b32 s6, s6, exec_lo
	s_delay_alu instid0(SALU_CYCLE_1)
	s_or_b32 s57, s57, s6
.LBB2_28:                               ;   in Loop: Header=BB2_6 Depth=1
	s_or_b32 exec_lo, exec_lo, s58
	s_delay_alu instid0(VALU_DEP_2)
	s_and_saveexec_b32 s6, s57
	s_cbranch_execz .LBB2_30
; %bb.29:                               ;   in Loop: Header=BB2_6 Depth=1
	s_waitcnt lgkmcnt(0)
	v_dual_mov_b32 v7, v11 :: v_dual_mov_b32 v2, v10
	ds_store_b32 v21, v10
	ds_store_b32 v20, v11
.LBB2_30:                               ;   in Loop: Header=BB2_6 Depth=1
	s_or_b32 exec_lo, exec_lo, s6
.LBB2_31:                               ;   in Loop: Header=BB2_6 Depth=1
	s_delay_alu instid0(SALU_CYCLE_1)
	s_or_b32 exec_lo, exec_lo, s7
	s_waitcnt lgkmcnt(0)
	s_barrier
	buffer_gl0_inv
	s_and_saveexec_b32 s7, s1
	s_cbranch_execz .LBB2_37
; %bb.32:                               ;   in Loop: Header=BB2_6 Depth=1
	ds_load_b32 v10, v21 offset:256
	ds_load_b32 v11, v20 offset:256
	s_mov_b32 s58, exec_lo
	s_waitcnt lgkmcnt(1)
	v_cmp_lt_f32_e64 s57, v2, v10
	v_cmpx_nlt_f32_e32 v2, v10
	s_cbranch_execz .LBB2_34
; %bb.33:                               ;   in Loop: Header=BB2_6 Depth=1
	v_cmp_eq_f32_e32 vcc_lo, v2, v10
	s_waitcnt lgkmcnt(0)
	v_cmp_gt_i32_e64 s6, v7, v11
	s_and_not1_b32 s57, s57, exec_lo
	s_delay_alu instid0(VALU_DEP_1) | instskip(NEXT) | instid1(SALU_CYCLE_1)
	s_and_b32 s6, vcc_lo, s6
	s_and_b32 s6, s6, exec_lo
	s_delay_alu instid0(SALU_CYCLE_1)
	s_or_b32 s57, s57, s6
.LBB2_34:                               ;   in Loop: Header=BB2_6 Depth=1
	s_or_b32 exec_lo, exec_lo, s58
	s_delay_alu instid0(VALU_DEP_2)
	s_and_saveexec_b32 s6, s57
	s_cbranch_execz .LBB2_36
; %bb.35:                               ;   in Loop: Header=BB2_6 Depth=1
	s_waitcnt lgkmcnt(0)
	v_dual_mov_b32 v7, v11 :: v_dual_mov_b32 v2, v10
	ds_store_b32 v21, v10
	ds_store_b32 v20, v11
.LBB2_36:                               ;   in Loop: Header=BB2_6 Depth=1
	s_or_b32 exec_lo, exec_lo, s6
.LBB2_37:                               ;   in Loop: Header=BB2_6 Depth=1
	s_delay_alu instid0(SALU_CYCLE_1)
	s_or_b32 exec_lo, exec_lo, s7
	s_waitcnt lgkmcnt(0)
	s_barrier
	buffer_gl0_inv
	s_and_b32 exec_lo, exec_lo, s3
	s_cbranch_execz .LBB2_60
; %bb.38:                               ;   in Loop: Header=BB2_6 Depth=1
	ds_load_b32 v10, v21 offset:128
	ds_load_b32 v11, v20 offset:128
	s_mov_b32 s57, exec_lo
	s_waitcnt lgkmcnt(1)
	v_cmp_lt_f32_e64 s7, v2, v10
	v_cmpx_nlt_f32_e32 v2, v10
	s_cbranch_execz .LBB2_40
; %bb.39:                               ;   in Loop: Header=BB2_6 Depth=1
	v_cmp_eq_f32_e32 vcc_lo, v2, v10
	s_waitcnt lgkmcnt(0)
	v_cmp_gt_i32_e64 s6, v7, v11
	s_and_not1_b32 s7, s7, exec_lo
	s_delay_alu instid0(VALU_DEP_1) | instskip(NEXT) | instid1(SALU_CYCLE_1)
	s_and_b32 s6, vcc_lo, s6
	s_and_b32 s6, s6, exec_lo
	s_delay_alu instid0(SALU_CYCLE_1)
	s_or_b32 s7, s7, s6
.LBB2_40:                               ;   in Loop: Header=BB2_6 Depth=1
	s_or_b32 exec_lo, exec_lo, s57
	s_delay_alu instid0(VALU_DEP_2)
	s_and_saveexec_b32 s6, s7
	s_cbranch_execz .LBB2_42
; %bb.41:                               ;   in Loop: Header=BB2_6 Depth=1
	s_waitcnt lgkmcnt(0)
	v_dual_mov_b32 v2, v10 :: v_dual_mov_b32 v7, v11
	ds_store_b32 v21, v10
	ds_store_b32 v20, v11
.LBB2_42:                               ;   in Loop: Header=BB2_6 Depth=1
	s_or_b32 exec_lo, exec_lo, s6
	ds_load_b32 v10, v21 offset:64
	s_waitcnt lgkmcnt(1)
	ds_load_b32 v11, v20 offset:64
	s_mov_b32 s57, exec_lo
	s_waitcnt lgkmcnt(1)
	v_cmp_lt_f32_e64 s7, v2, v10
	v_cmpx_nlt_f32_e32 v2, v10
	s_cbranch_execz .LBB2_44
; %bb.43:                               ;   in Loop: Header=BB2_6 Depth=1
	v_cmp_eq_f32_e32 vcc_lo, v2, v10
	s_waitcnt lgkmcnt(0)
	v_cmp_gt_i32_e64 s6, v7, v11
	s_and_not1_b32 s7, s7, exec_lo
	s_delay_alu instid0(VALU_DEP_1) | instskip(NEXT) | instid1(SALU_CYCLE_1)
	s_and_b32 s6, vcc_lo, s6
	s_and_b32 s6, s6, exec_lo
	s_delay_alu instid0(SALU_CYCLE_1)
	s_or_b32 s7, s7, s6
.LBB2_44:                               ;   in Loop: Header=BB2_6 Depth=1
	s_or_b32 exec_lo, exec_lo, s57
	s_delay_alu instid0(VALU_DEP_2)
	s_and_saveexec_b32 s6, s7
	s_cbranch_execz .LBB2_46
; %bb.45:                               ;   in Loop: Header=BB2_6 Depth=1
	s_waitcnt lgkmcnt(0)
	v_dual_mov_b32 v2, v10 :: v_dual_mov_b32 v7, v11
	ds_store_b32 v21, v10
	ds_store_b32 v20, v11
.LBB2_46:                               ;   in Loop: Header=BB2_6 Depth=1
	s_or_b32 exec_lo, exec_lo, s6
	ds_load_b32 v10, v21 offset:32
	s_waitcnt lgkmcnt(1)
	;; [unrolled: 30-line block ×5, first 2 shown]
	ds_load_b32 v11, v20 offset:4
	s_waitcnt lgkmcnt(1)
	v_cmp_eq_f32_e32 vcc_lo, v2, v10
	s_waitcnt lgkmcnt(0)
	v_cmp_gt_i32_e64 s6, v7, v11
	v_cmp_lt_f32_e64 s7, v2, v10
	s_delay_alu instid0(VALU_DEP_2)
	s_and_b32 s6, vcc_lo, s6
	s_delay_alu instid0(VALU_DEP_1) | instid1(SALU_CYCLE_1)
	s_or_b32 s6, s7, s6
	s_delay_alu instid0(SALU_CYCLE_1)
	s_and_b32 exec_lo, exec_lo, s6
	s_cbranch_execz .LBB2_60
; %bb.59:                               ;   in Loop: Header=BB2_6 Depth=1
	ds_store_b32 v21, v10
	ds_store_b32 v20, v11
.LBB2_60:                               ;   in Loop: Header=BB2_6 Depth=1
	s_or_b32 exec_lo, exec_lo, s56
	s_and_saveexec_b32 s6, s2
	s_cbranch_execz .LBB2_62
; %bb.61:                               ;   in Loop: Header=BB2_6 Depth=1
	global_load_b32 v2, v[8:9], off
	ds_load_2addr_stride64_b32 v[10:11], v3 offset1:4
	s_waitcnt lgkmcnt(0)
	v_add_nc_u32_e32 v7, v10, v1
	s_waitcnt vmcnt(0)
	v_and_b32_e32 v10, 0x7fffffff, v2
	ds_store_b32 v3, v7 offset:2048
	ds_store_b64 v3, v[10:11] offset:2056
.LBB2_62:                               ;   in Loop: Header=BB2_6 Depth=1
	s_or_b32 exec_lo, exec_lo, s6
	s_waitcnt lgkmcnt(0)
	s_barrier
	buffer_gl0_inv
	ds_load_b64 v[10:11], v3 offset:2056
	v_add_nc_u32_e32 v35, 1, v1
	s_waitcnt lgkmcnt(0)
	v_cmp_lt_f32_e32 vcc_lo, v10, v11
	v_cndmask_b32_e32 v2, v10, v11, vcc_lo
	s_delay_alu instid0(VALU_DEP_1)
	v_cmp_neq_f32_e32 vcc_lo, 0, v2
	s_cbranch_vccz .LBB2_80
; %bb.63:                               ;   in Loop: Header=BB2_6 Depth=1
	v_mul_f32_e32 v2, 0x3f23f07b, v11
	s_delay_alu instid0(VALU_DEP_1)
	v_cmp_ge_f32_e32 vcc_lo, v10, v2
	s_cbranch_vccnz .LBB2_175
; %bb.64:                               ;   in Loop: Header=BB2_6 Depth=1
	ds_load_b32 v2, v3 offset:2048
	s_mov_b32 s7, exec_lo
	s_waitcnt lgkmcnt(0)
	v_sub_nc_u32_e32 v7, v2, v1
	s_delay_alu instid0(VALU_DEP_1)
	v_cmpx_gt_i32_e64 v7, v0
	s_cbranch_execz .LBB2_67
; %bb.65:                               ;   in Loop: Header=BB2_6 Depth=1
	v_add_nc_u32_e32 v14, v0, v1
	s_mov_b32 s56, 0
	s_delay_alu instid0(VALU_DEP_1) | instskip(NEXT) | instid1(VALU_DEP_1)
	v_mad_u64_u32 v[10:11], null, v35, s18, v[14:15]
	v_ashrrev_i32_e32 v11, 31, v10
	s_delay_alu instid0(VALU_DEP_1) | instskip(SKIP_1) | instid1(VALU_DEP_2)
	v_lshlrev_b64 v[15:16], 2, v[10:11]
	v_mad_u64_u32 v[10:11], null, s17, v14, v[2:3]
	v_add_co_u32 v14, vcc_lo, s50, v15
	s_delay_alu instid0(VALU_DEP_3)
	v_add_co_ci_u32_e32 v15, vcc_lo, s51, v16, vcc_lo
	v_mov_b32_e32 v16, v0
	.p2align	6
.LBB2_66:                               ;   Parent Loop BB2_6 Depth=1
                                        ; =>  This Inner Loop Header: Depth=2
	s_delay_alu instid0(VALU_DEP_4) | instskip(NEXT) | instid1(VALU_DEP_2)
	v_ashrrev_i32_e32 v11, 31, v10
	v_add_nc_u32_e32 v16, 0x100, v16
	s_delay_alu instid0(VALU_DEP_2) | instskip(SKIP_1) | instid1(VALU_DEP_2)
	v_lshlrev_b64 v[17:18], 2, v[10:11]
	v_add_nc_u32_e32 v10, s8, v10
	v_add_co_u32 v17, vcc_lo, s16, v17
	s_delay_alu instid0(VALU_DEP_3)
	v_add_co_ci_u32_e32 v18, vcc_lo, s33, v18, vcc_lo
	v_cmp_ge_i32_e32 vcc_lo, v16, v7
	global_load_b32 v11, v[17:18], off
	s_or_b32 s56, vcc_lo, s56
	s_waitcnt vmcnt(0)
	global_store_b32 v[14:15], v11, off
	v_add_co_u32 v14, s6, 0x400, v14
	s_delay_alu instid0(VALU_DEP_1)
	v_add_co_ci_u32_e64 v15, s6, 0, v15, s6
	s_and_not1_b32 exec_lo, exec_lo, s56
	s_cbranch_execnz .LBB2_66
.LBB2_67:                               ;   in Loop: Header=BB2_6 Depth=1
	s_or_b32 exec_lo, exec_lo, s7
	v_sub_nc_u32_e32 v7, s18, v2
	s_mov_b32 s6, exec_lo
                                        ; implicit-def: $vgpr10
	s_delay_alu instid0(VALU_DEP_1)
	v_cmpx_le_i32_e64 v7, v0
	s_xor_b32 s6, exec_lo, s6
; %bb.68:                               ;   in Loop: Header=BB2_6 Depth=1
	v_mul_lo_u32 v10, v35, s18
                                        ; implicit-def: $vgpr7
                                        ; implicit-def: $vgpr2
; %bb.69:                               ;   in Loop: Header=BB2_6 Depth=1
	s_and_not1_saveexec_b32 s7, s6
	s_cbranch_execz .LBB2_73
; %bb.70:                               ;   in Loop: Header=BB2_6 Depth=1
	v_mul_lo_u32 v10, v35, s18
	v_mad_u64_u32 v[14:15], null, s45, v2, v[0:1]
	s_mov_b32 s56, 0
	s_delay_alu instid0(VALU_DEP_2) | instskip(NEXT) | instid1(VALU_DEP_2)
	v_add3_u32 v16, v0, v2, v10
	v_ashrrev_i32_e32 v15, 31, v14
	v_mov_b32_e32 v2, v0
	s_delay_alu instid0(VALU_DEP_3) | instskip(NEXT) | instid1(VALU_DEP_3)
	v_ashrrev_i32_e32 v17, 31, v16
	v_lshlrev_b64 v[14:15], 2, v[14:15]
	s_delay_alu instid0(VALU_DEP_2) | instskip(NEXT) | instid1(VALU_DEP_2)
	v_lshlrev_b64 v[16:17], 2, v[16:17]
	v_add_co_u32 v14, vcc_lo, s52, v14
	s_delay_alu instid0(VALU_DEP_3) | instskip(NEXT) | instid1(VALU_DEP_3)
	v_add_co_ci_u32_e32 v15, vcc_lo, s53, v15, vcc_lo
	v_add_co_u32 v16, vcc_lo, s50, v16
	s_delay_alu instid0(VALU_DEP_4)
	v_add_co_ci_u32_e32 v17, vcc_lo, s51, v17, vcc_lo
	.p2align	6
.LBB2_71:                               ;   Parent Loop BB2_6 Depth=1
                                        ; =>  This Inner Loop Header: Depth=2
	global_load_b32 v11, v[14:15], off
	v_add_nc_u32_e32 v2, 0x100, v2
	v_add_co_u32 v14, vcc_lo, 0x400, v14
	v_add_co_ci_u32_e32 v15, vcc_lo, 0, v15, vcc_lo
	s_delay_alu instid0(VALU_DEP_3) | instskip(SKIP_4) | instid1(VALU_DEP_1)
	v_cmp_ge_i32_e32 vcc_lo, v2, v7
	s_or_b32 s56, vcc_lo, s56
	s_waitcnt vmcnt(0)
	global_store_b32 v[16:17], v11, off
	v_add_co_u32 v16, s6, 0x400, v16
	v_add_co_ci_u32_e64 v17, s6, 0, v17, s6
	s_and_not1_b32 exec_lo, exec_lo, s56
	s_cbranch_execnz .LBB2_71
; %bb.72:                               ;   in Loop: Header=BB2_6 Depth=1
	s_or_b32 exec_lo, exec_lo, s56
.LBB2_73:                               ;   in Loop: Header=BB2_6 Depth=1
	s_delay_alu instid0(SALU_CYCLE_1) | instskip(NEXT) | instid1(VALU_DEP_1)
	s_or_b32 exec_lo, exec_lo, s7
	v_ashrrev_i32_e32 v11, 31, v10
	s_waitcnt_vscnt null, 0x0
	s_barrier
	buffer_gl0_inv
	s_and_saveexec_b32 s56, s5
	s_cbranch_execz .LBB2_81
; %bb.74:                               ;   in Loop: Header=BB2_6 Depth=1
	ds_load_b32 v16, v3 offset:2048
	v_lshlrev_b64 v[18:19], 2, v[10:11]
	v_add_co_u32 v14, s6, v24, v4
	s_delay_alu instid0(VALU_DEP_1) | instskip(SKIP_1) | instid1(VALU_DEP_4)
	v_add_co_ci_u32_e64 v15, s6, v25, v5, s6
	v_cmp_ne_u32_e32 vcc_lo, 0, v1
	v_add_co_u32 v7, s6, v12, v18
	s_delay_alu instid0(VALU_DEP_1) | instskip(SKIP_4) | instid1(VALU_DEP_1)
	v_add_co_ci_u32_e64 v37, s6, v13, v19, s6
	v_mov_b32_e32 v2, v0
	s_mov_b32 s57, 0
	s_waitcnt lgkmcnt(0)
	v_ashrrev_i32_e32 v17, 31, v16
	v_lshlrev_b64 v[16:17], 2, v[16:17]
	s_delay_alu instid0(VALU_DEP_1) | instskip(NEXT) | instid1(VALU_DEP_1)
	v_add_co_u32 v12, s6, s20, v16
	v_add_co_ci_u32_e64 v13, s6, s21, v17, s6
	s_branch .LBB2_76
.LBB2_75:                               ;   in Loop: Header=BB2_76 Depth=2
	s_or_b32 exec_lo, exec_lo, s58
	v_lshlrev_b64 v[16:17], 2, v[2:3]
	v_add_nc_u32_e32 v2, 0x100, v2
	v_add_co_u32 v14, s7, 0x400, v14
	s_delay_alu instid0(VALU_DEP_1) | instskip(NEXT) | instid1(VALU_DEP_4)
	v_add_co_ci_u32_e64 v15, s7, 0, v15, s7
	v_add_co_u32 v16, s6, v7, v16
	s_delay_alu instid0(VALU_DEP_1)
	v_add_co_ci_u32_e64 v17, s6, v37, v17, s6
	v_cmp_ge_i32_e64 s6, v2, v36
	global_load_b32 v18, v[16:17], off
	s_or_b32 s57, s6, s57
	s_waitcnt vmcnt(0)
	v_sub_f32_e32 v18, v18, v38
	global_store_b32 v[16:17], v18, off
	s_and_not1_b32 exec_lo, exec_lo, s57
	s_cbranch_execz .LBB2_81
.LBB2_76:                               ;   Parent Loop BB2_6 Depth=1
                                        ; =>  This Loop Header: Depth=2
                                        ;       Child Loop BB2_78 Depth 3
	v_mov_b32_e32 v38, 0
	s_and_saveexec_b32 s58, vcc_lo
	s_cbranch_execz .LBB2_75
; %bb.77:                               ;   in Loop: Header=BB2_76 Depth=2
	v_dual_mov_b32 v38, 0 :: v_dual_mov_b32 v17, v15
	v_dual_mov_b32 v16, v14 :: v_dual_mov_b32 v19, v13
	;; [unrolled: 1-line block ×3, first 2 shown]
	s_mov_b32 s59, 0
	.p2align	6
.LBB2_78:                               ;   Parent Loop BB2_6 Depth=1
                                        ;     Parent Loop BB2_76 Depth=2
                                        ; =>    This Inner Loop Header: Depth=3
	global_load_b32 v40, v[16:17], off
	global_load_b32 v41, v[18:19], off
	v_add_nc_u32_e32 v39, -1, v39
	v_add_co_u32 v18, s6, v18, s34
	s_delay_alu instid0(VALU_DEP_1) | instskip(SKIP_1) | instid1(VALU_DEP_1)
	v_add_co_ci_u32_e64 v19, s6, s35, v19, s6
	v_add_co_u32 v16, s6, v16, s36
	v_add_co_ci_u32_e64 v17, s6, s37, v17, s6
	s_waitcnt vmcnt(0)
	v_fmac_f32_e32 v38, v40, v41
	v_cmp_eq_u32_e64 s7, 0, v39
	s_delay_alu instid0(VALU_DEP_1) | instskip(NEXT) | instid1(SALU_CYCLE_1)
	s_or_b32 s59, s7, s59
	s_and_not1_b32 exec_lo, exec_lo, s59
	s_cbranch_execnz .LBB2_78
; %bb.79:                               ;   in Loop: Header=BB2_76 Depth=2
	s_or_b32 exec_lo, exec_lo, s59
	s_branch .LBB2_75
.LBB2_80:                               ;   in Loop: Header=BB2_6 Depth=1
                                        ; implicit-def: $sgpr5
                                        ; implicit-def: $vgpr2
                                        ; implicit-def: $vgpr7
	s_cbranch_execnz .LBB2_208
	s_branch .LBB2_211
.LBB2_81:                               ;   in Loop: Header=BB2_6 Depth=1
	s_or_b32 exec_lo, exec_lo, s56
	s_waitcnt_vscnt null, 0x0
	s_barrier
	buffer_gl0_inv
	ds_load_b32 v2, v3 offset:2048
	v_mov_b32_e32 v7, 0
	s_mov_b32 s7, exec_lo
	s_waitcnt lgkmcnt(0)
	v_sub_nc_u32_e32 v14, v2, v1
	v_bfrev_b32_e32 v2, -2
	s_delay_alu instid0(VALU_DEP_2)
	v_cmpx_gt_i32_e64 v14, v0
	s_cbranch_execz .LBB2_85
; %bb.82:                               ;   in Loop: Header=BB2_6 Depth=1
	v_lshlrev_b64 v[12:13], 2, v[10:11]
	v_bfrev_b32_e32 v2, -2
	v_mov_b32_e32 v7, 0
	v_mov_b32_e32 v15, v0
	s_mov_b32 s56, 0
	s_delay_alu instid0(VALU_DEP_4) | instskip(SKIP_1) | instid1(VALU_DEP_2)
	v_add_co_u32 v12, vcc_lo, v12, v4
	v_add_co_ci_u32_e32 v13, vcc_lo, v13, v5, vcc_lo
	v_add_co_u32 v12, vcc_lo, v27, v12
	s_delay_alu instid0(VALU_DEP_2)
	v_add_co_ci_u32_e32 v13, vcc_lo, v28, v13, vcc_lo
	.p2align	6
.LBB2_83:                               ;   Parent Loop BB2_6 Depth=1
                                        ; =>  This Inner Loop Header: Depth=2
	global_load_b32 v16, v[12:13], off
	v_cmp_eq_u32_e32 vcc_lo, 0x7fffffff, v2
	v_add_nc_u32_e32 v17, 1, v15
	v_add_co_u32 v12, s6, 0x400, v12
	s_delay_alu instid0(VALU_DEP_1) | instskip(SKIP_2) | instid1(VALU_DEP_1)
	v_add_co_ci_u32_e64 v13, s6, 0, v13, s6
	s_waitcnt vmcnt(0)
	v_cmp_lt_f32_e64 s57, v7, |v16|
	s_or_b32 vcc_lo, s57, vcc_lo
	v_dual_cndmask_b32 v2, v2, v17 :: v_dual_add_nc_u32 v15, 0x100, v15
	v_cndmask_b32_e64 v7, v7, |v16|, vcc_lo
	s_delay_alu instid0(VALU_DEP_2) | instskip(NEXT) | instid1(VALU_DEP_1)
	v_cmp_ge_i32_e64 s6, v15, v14
	s_or_b32 s56, s6, s56
	s_delay_alu instid0(SALU_CYCLE_1)
	s_and_not1_b32 exec_lo, exec_lo, s56
	s_cbranch_execnz .LBB2_83
; %bb.84:                               ;   in Loop: Header=BB2_6 Depth=1
	s_or_b32 exec_lo, exec_lo, s56
.LBB2_85:                               ;   in Loop: Header=BB2_6 Depth=1
	s_delay_alu instid0(SALU_CYCLE_1) | instskip(NEXT) | instid1(SALU_CYCLE_1)
	s_or_b32 exec_lo, exec_lo, s7
	s_mov_b32 s56, exec_lo
	ds_store_b32 v21, v7
	ds_store_b32 v20, v2
	s_waitcnt lgkmcnt(0)
	s_barrier
	buffer_gl0_inv
	v_cmpx_lt_i32_e32 1, v14
	s_cbranch_execz .LBB2_121
; %bb.86:                               ;   in Loop: Header=BB2_6 Depth=1
	s_and_saveexec_b32 s7, s0
	s_cbranch_execz .LBB2_92
; %bb.87:                               ;   in Loop: Header=BB2_6 Depth=1
	ds_load_b32 v12, v21 offset:512
	ds_load_b32 v13, v20 offset:512
	s_mov_b32 s58, exec_lo
	s_waitcnt lgkmcnt(1)
	v_cmp_lt_f32_e64 s57, v7, v12
	v_cmpx_nlt_f32_e32 v7, v12
	s_cbranch_execz .LBB2_89
; %bb.88:                               ;   in Loop: Header=BB2_6 Depth=1
	v_cmp_eq_f32_e32 vcc_lo, v7, v12
	s_waitcnt lgkmcnt(0)
	v_cmp_gt_i32_e64 s6, v2, v13
	s_and_not1_b32 s57, s57, exec_lo
	s_delay_alu instid0(VALU_DEP_1) | instskip(NEXT) | instid1(SALU_CYCLE_1)
	s_and_b32 s6, vcc_lo, s6
	s_and_b32 s6, s6, exec_lo
	s_delay_alu instid0(SALU_CYCLE_1)
	s_or_b32 s57, s57, s6
.LBB2_89:                               ;   in Loop: Header=BB2_6 Depth=1
	s_or_b32 exec_lo, exec_lo, s58
	s_delay_alu instid0(VALU_DEP_2)
	s_and_saveexec_b32 s6, s57
	s_cbranch_execz .LBB2_91
; %bb.90:                               ;   in Loop: Header=BB2_6 Depth=1
	s_waitcnt lgkmcnt(0)
	v_dual_mov_b32 v2, v13 :: v_dual_mov_b32 v7, v12
	ds_store_b32 v21, v12
	ds_store_b32 v20, v13
.LBB2_91:                               ;   in Loop: Header=BB2_6 Depth=1
	s_or_b32 exec_lo, exec_lo, s6
.LBB2_92:                               ;   in Loop: Header=BB2_6 Depth=1
	s_delay_alu instid0(SALU_CYCLE_1)
	s_or_b32 exec_lo, exec_lo, s7
	s_waitcnt lgkmcnt(0)
	s_barrier
	buffer_gl0_inv
	s_and_saveexec_b32 s7, s1
	s_cbranch_execz .LBB2_98
; %bb.93:                               ;   in Loop: Header=BB2_6 Depth=1
	ds_load_b32 v12, v21 offset:256
	ds_load_b32 v13, v20 offset:256
	s_mov_b32 s58, exec_lo
	s_waitcnt lgkmcnt(1)
	v_cmp_lt_f32_e64 s57, v7, v12
	v_cmpx_nlt_f32_e32 v7, v12
	s_cbranch_execz .LBB2_95
; %bb.94:                               ;   in Loop: Header=BB2_6 Depth=1
	v_cmp_eq_f32_e32 vcc_lo, v7, v12
	s_waitcnt lgkmcnt(0)
	v_cmp_gt_i32_e64 s6, v2, v13
	s_and_not1_b32 s57, s57, exec_lo
	s_delay_alu instid0(VALU_DEP_1) | instskip(NEXT) | instid1(SALU_CYCLE_1)
	s_and_b32 s6, vcc_lo, s6
	s_and_b32 s6, s6, exec_lo
	s_delay_alu instid0(SALU_CYCLE_1)
	s_or_b32 s57, s57, s6
.LBB2_95:                               ;   in Loop: Header=BB2_6 Depth=1
	s_or_b32 exec_lo, exec_lo, s58
	s_delay_alu instid0(VALU_DEP_2)
	s_and_saveexec_b32 s6, s57
	s_cbranch_execz .LBB2_97
; %bb.96:                               ;   in Loop: Header=BB2_6 Depth=1
	s_waitcnt lgkmcnt(0)
	v_dual_mov_b32 v2, v13 :: v_dual_mov_b32 v7, v12
	ds_store_b32 v21, v12
	ds_store_b32 v20, v13
.LBB2_97:                               ;   in Loop: Header=BB2_6 Depth=1
	s_or_b32 exec_lo, exec_lo, s6
.LBB2_98:                               ;   in Loop: Header=BB2_6 Depth=1
	s_delay_alu instid0(SALU_CYCLE_1)
	s_or_b32 exec_lo, exec_lo, s7
	s_waitcnt lgkmcnt(0)
	s_barrier
	buffer_gl0_inv
	s_and_b32 exec_lo, exec_lo, s3
	s_cbranch_execz .LBB2_121
; %bb.99:                               ;   in Loop: Header=BB2_6 Depth=1
	ds_load_b32 v12, v21 offset:128
	ds_load_b32 v13, v20 offset:128
	s_mov_b32 s57, exec_lo
	s_waitcnt lgkmcnt(1)
	v_cmp_lt_f32_e64 s7, v7, v12
	v_cmpx_nlt_f32_e32 v7, v12
	s_cbranch_execz .LBB2_101
; %bb.100:                              ;   in Loop: Header=BB2_6 Depth=1
	v_cmp_eq_f32_e32 vcc_lo, v7, v12
	s_waitcnt lgkmcnt(0)
	v_cmp_gt_i32_e64 s6, v2, v13
	s_and_not1_b32 s7, s7, exec_lo
	s_delay_alu instid0(VALU_DEP_1) | instskip(NEXT) | instid1(SALU_CYCLE_1)
	s_and_b32 s6, vcc_lo, s6
	s_and_b32 s6, s6, exec_lo
	s_delay_alu instid0(SALU_CYCLE_1)
	s_or_b32 s7, s7, s6
.LBB2_101:                              ;   in Loop: Header=BB2_6 Depth=1
	s_or_b32 exec_lo, exec_lo, s57
	s_delay_alu instid0(VALU_DEP_2)
	s_and_saveexec_b32 s6, s7
	s_cbranch_execz .LBB2_103
; %bb.102:                              ;   in Loop: Header=BB2_6 Depth=1
	s_waitcnt lgkmcnt(0)
	v_dual_mov_b32 v7, v12 :: v_dual_mov_b32 v2, v13
	ds_store_b32 v21, v12
	ds_store_b32 v20, v13
.LBB2_103:                              ;   in Loop: Header=BB2_6 Depth=1
	s_or_b32 exec_lo, exec_lo, s6
	ds_load_b32 v12, v21 offset:64
	s_waitcnt lgkmcnt(1)
	ds_load_b32 v13, v20 offset:64
	s_mov_b32 s57, exec_lo
	s_waitcnt lgkmcnt(1)
	v_cmp_lt_f32_e64 s7, v7, v12
	v_cmpx_nlt_f32_e32 v7, v12
	s_cbranch_execz .LBB2_105
; %bb.104:                              ;   in Loop: Header=BB2_6 Depth=1
	v_cmp_eq_f32_e32 vcc_lo, v7, v12
	s_waitcnt lgkmcnt(0)
	v_cmp_gt_i32_e64 s6, v2, v13
	s_and_not1_b32 s7, s7, exec_lo
	s_delay_alu instid0(VALU_DEP_1) | instskip(NEXT) | instid1(SALU_CYCLE_1)
	s_and_b32 s6, vcc_lo, s6
	s_and_b32 s6, s6, exec_lo
	s_delay_alu instid0(SALU_CYCLE_1)
	s_or_b32 s7, s7, s6
.LBB2_105:                              ;   in Loop: Header=BB2_6 Depth=1
	s_or_b32 exec_lo, exec_lo, s57
	s_delay_alu instid0(VALU_DEP_2)
	s_and_saveexec_b32 s6, s7
	s_cbranch_execz .LBB2_107
; %bb.106:                              ;   in Loop: Header=BB2_6 Depth=1
	s_waitcnt lgkmcnt(0)
	v_dual_mov_b32 v7, v12 :: v_dual_mov_b32 v2, v13
	ds_store_b32 v21, v12
	ds_store_b32 v20, v13
.LBB2_107:                              ;   in Loop: Header=BB2_6 Depth=1
	s_or_b32 exec_lo, exec_lo, s6
	ds_load_b32 v12, v21 offset:32
	s_waitcnt lgkmcnt(1)
	;; [unrolled: 30-line block ×5, first 2 shown]
	ds_load_b32 v13, v20 offset:4
	s_waitcnt lgkmcnt(1)
	v_cmp_eq_f32_e32 vcc_lo, v7, v12
	s_waitcnt lgkmcnt(0)
	v_cmp_gt_i32_e64 s6, v2, v13
	v_cmp_lt_f32_e64 s7, v7, v12
	s_delay_alu instid0(VALU_DEP_2)
	s_and_b32 s6, vcc_lo, s6
	s_delay_alu instid0(VALU_DEP_1) | instid1(SALU_CYCLE_1)
	s_or_b32 s6, s7, s6
	s_delay_alu instid0(SALU_CYCLE_1)
	s_and_b32 exec_lo, exec_lo, s6
	s_cbranch_execz .LBB2_121
; %bb.120:                              ;   in Loop: Header=BB2_6 Depth=1
	ds_store_b32 v21, v12
	ds_store_b32 v20, v13
.LBB2_121:                              ;   in Loop: Header=BB2_6 Depth=1
	s_or_b32 exec_lo, exec_lo, s56
	s_and_saveexec_b32 s6, s2
	s_cbranch_execz .LBB2_123
; %bb.122:                              ;   in Loop: Header=BB2_6 Depth=1
	ds_load_b32 v2, v3 offset:1024
	s_waitcnt lgkmcnt(0)
	ds_store_b32 v3, v2 offset:2064
.LBB2_123:                              ;   in Loop: Header=BB2_6 Depth=1
	s_or_b32 exec_lo, exec_lo, s6
	ds_load_b32 v2, v3 offset:2048
	s_waitcnt lgkmcnt(0)
	v_cmp_le_i32_e32 vcc_lo, s44, v2
	v_readfirstlane_b32 s6, v2
	s_cbranch_vccnz .LBB2_168
; %bb.124:                              ;   in Loop: Header=BB2_6 Depth=1
	v_bfrev_b32_e32 v2, -2
	v_mov_b32_e32 v7, 0
	s_delay_alu instid0(VALU_DEP_3) | instskip(SKIP_2) | instid1(SALU_CYCLE_1)
	s_not_b32 s56, s6
	s_mov_b32 s57, exec_lo
	s_add_i32 s56, s56, s18
	v_cmpx_gt_i32_e64 s56, v0
	s_cbranch_execz .LBB2_128
; %bb.125:                              ;   in Loop: Header=BB2_6 Depth=1
	v_lshlrev_b64 v[11:12], 2, v[10:11]
	s_ashr_i32 s7, s6, 31
	v_bfrev_b32_e32 v2, -2
	s_lshl_b64 s[6:7], s[6:7], 2
	v_mov_b32_e32 v13, v0
	s_delay_alu instid0(VALU_DEP_3) | instskip(SKIP_2) | instid1(VALU_DEP_2)
	v_add_co_u32 v7, vcc_lo, v11, s6
	v_add_co_ci_u32_e32 v12, vcc_lo, s7, v12, vcc_lo
	s_mov_b32 s7, 0
	v_add_co_u32 v11, vcc_lo, v29, v7
	s_delay_alu instid0(VALU_DEP_2)
	v_add_co_ci_u32_e32 v12, vcc_lo, v30, v12, vcc_lo
	v_mov_b32_e32 v7, 0
	.p2align	6
.LBB2_126:                              ;   Parent Loop BB2_6 Depth=1
                                        ; =>  This Inner Loop Header: Depth=2
	global_load_b32 v14, v[11:12], off
	v_cmp_eq_u32_e32 vcc_lo, 0x7fffffff, v2
	v_add_nc_u32_e32 v15, 1, v13
	v_add_co_u32 v11, s6, 0x400, v11
	s_delay_alu instid0(VALU_DEP_1) | instskip(SKIP_2) | instid1(VALU_DEP_1)
	v_add_co_ci_u32_e64 v12, s6, 0, v12, s6
	s_waitcnt vmcnt(0)
	v_cmp_lt_f32_e64 s58, v7, |v14|
	s_or_b32 vcc_lo, s58, vcc_lo
	v_dual_cndmask_b32 v2, v2, v15 :: v_dual_add_nc_u32 v13, 0x100, v13
	v_cndmask_b32_e64 v7, v7, |v14|, vcc_lo
	s_delay_alu instid0(VALU_DEP_2) | instskip(NEXT) | instid1(VALU_DEP_1)
	v_cmp_le_i32_e64 s6, s56, v13
	s_or_b32 s7, s6, s7
	s_delay_alu instid0(SALU_CYCLE_1)
	s_and_not1_b32 exec_lo, exec_lo, s7
	s_cbranch_execnz .LBB2_126
; %bb.127:                              ;   in Loop: Header=BB2_6 Depth=1
	s_or_b32 exec_lo, exec_lo, s7
.LBB2_128:                              ;   in Loop: Header=BB2_6 Depth=1
	s_delay_alu instid0(SALU_CYCLE_1)
	s_or_b32 exec_lo, exec_lo, s57
	s_cmp_lt_i32 s56, 2
	ds_store_b32 v21, v7
	ds_store_b32 v20, v2
	s_waitcnt lgkmcnt(0)
	s_barrier
	buffer_gl0_inv
	s_cbranch_scc1 .LBB2_165
; %bb.129:                              ;   in Loop: Header=BB2_6 Depth=1
	s_and_saveexec_b32 s7, s0
	s_cbranch_execz .LBB2_135
; %bb.130:                              ;   in Loop: Header=BB2_6 Depth=1
	ds_load_b32 v11, v21 offset:512
	ds_load_b32 v12, v20 offset:512
	s_mov_b32 s57, exec_lo
	s_waitcnt lgkmcnt(1)
	v_cmp_lt_f32_e64 s56, v7, v11
	v_cmpx_nlt_f32_e32 v7, v11
	s_cbranch_execz .LBB2_132
; %bb.131:                              ;   in Loop: Header=BB2_6 Depth=1
	v_cmp_eq_f32_e32 vcc_lo, v7, v11
	s_waitcnt lgkmcnt(0)
	v_cmp_gt_i32_e64 s6, v2, v12
	s_and_not1_b32 s56, s56, exec_lo
	s_delay_alu instid0(VALU_DEP_1) | instskip(NEXT) | instid1(SALU_CYCLE_1)
	s_and_b32 s6, vcc_lo, s6
	s_and_b32 s6, s6, exec_lo
	s_delay_alu instid0(SALU_CYCLE_1)
	s_or_b32 s56, s56, s6
.LBB2_132:                              ;   in Loop: Header=BB2_6 Depth=1
	s_or_b32 exec_lo, exec_lo, s57
	s_delay_alu instid0(VALU_DEP_2)
	s_and_saveexec_b32 s6, s56
	s_cbranch_execz .LBB2_134
; %bb.133:                              ;   in Loop: Header=BB2_6 Depth=1
	s_waitcnt lgkmcnt(0)
	v_dual_mov_b32 v2, v12 :: v_dual_mov_b32 v7, v11
	ds_store_b32 v21, v11
	ds_store_b32 v20, v12
.LBB2_134:                              ;   in Loop: Header=BB2_6 Depth=1
	s_or_b32 exec_lo, exec_lo, s6
.LBB2_135:                              ;   in Loop: Header=BB2_6 Depth=1
	s_delay_alu instid0(SALU_CYCLE_1)
	s_or_b32 exec_lo, exec_lo, s7
	s_waitcnt lgkmcnt(0)
	s_barrier
	buffer_gl0_inv
	s_and_saveexec_b32 s7, s1
	s_cbranch_execz .LBB2_141
; %bb.136:                              ;   in Loop: Header=BB2_6 Depth=1
	ds_load_b32 v11, v21 offset:256
	ds_load_b32 v12, v20 offset:256
	s_mov_b32 s57, exec_lo
	s_waitcnt lgkmcnt(1)
	v_cmp_lt_f32_e64 s56, v7, v11
	v_cmpx_nlt_f32_e32 v7, v11
	s_cbranch_execz .LBB2_138
; %bb.137:                              ;   in Loop: Header=BB2_6 Depth=1
	v_cmp_eq_f32_e32 vcc_lo, v7, v11
	s_waitcnt lgkmcnt(0)
	v_cmp_gt_i32_e64 s6, v2, v12
	s_and_not1_b32 s56, s56, exec_lo
	s_delay_alu instid0(VALU_DEP_1) | instskip(NEXT) | instid1(SALU_CYCLE_1)
	s_and_b32 s6, vcc_lo, s6
	s_and_b32 s6, s6, exec_lo
	s_delay_alu instid0(SALU_CYCLE_1)
	s_or_b32 s56, s56, s6
.LBB2_138:                              ;   in Loop: Header=BB2_6 Depth=1
	s_or_b32 exec_lo, exec_lo, s57
	s_delay_alu instid0(VALU_DEP_2)
	s_and_saveexec_b32 s6, s56
	s_cbranch_execz .LBB2_140
; %bb.139:                              ;   in Loop: Header=BB2_6 Depth=1
	s_waitcnt lgkmcnt(0)
	v_dual_mov_b32 v2, v12 :: v_dual_mov_b32 v7, v11
	ds_store_b32 v21, v11
	ds_store_b32 v20, v12
.LBB2_140:                              ;   in Loop: Header=BB2_6 Depth=1
	s_or_b32 exec_lo, exec_lo, s6
.LBB2_141:                              ;   in Loop: Header=BB2_6 Depth=1
	s_delay_alu instid0(SALU_CYCLE_1)
	s_or_b32 exec_lo, exec_lo, s7
	s_waitcnt lgkmcnt(0)
	s_barrier
	buffer_gl0_inv
	s_and_saveexec_b32 s56, s3
	s_cbranch_execz .LBB2_164
; %bb.142:                              ;   in Loop: Header=BB2_6 Depth=1
	ds_load_b32 v11, v21 offset:128
	ds_load_b32 v12, v20 offset:128
	s_mov_b32 s57, exec_lo
	s_waitcnt lgkmcnt(1)
	v_cmp_lt_f32_e64 s7, v7, v11
	v_cmpx_nlt_f32_e32 v7, v11
	s_cbranch_execz .LBB2_144
; %bb.143:                              ;   in Loop: Header=BB2_6 Depth=1
	v_cmp_eq_f32_e32 vcc_lo, v7, v11
	s_waitcnt lgkmcnt(0)
	v_cmp_gt_i32_e64 s6, v2, v12
	s_and_not1_b32 s7, s7, exec_lo
	s_delay_alu instid0(VALU_DEP_1) | instskip(NEXT) | instid1(SALU_CYCLE_1)
	s_and_b32 s6, vcc_lo, s6
	s_and_b32 s6, s6, exec_lo
	s_delay_alu instid0(SALU_CYCLE_1)
	s_or_b32 s7, s7, s6
.LBB2_144:                              ;   in Loop: Header=BB2_6 Depth=1
	s_or_b32 exec_lo, exec_lo, s57
	s_delay_alu instid0(VALU_DEP_2)
	s_and_saveexec_b32 s6, s7
	s_cbranch_execz .LBB2_146
; %bb.145:                              ;   in Loop: Header=BB2_6 Depth=1
	s_waitcnt lgkmcnt(0)
	v_dual_mov_b32 v7, v11 :: v_dual_mov_b32 v2, v12
	ds_store_b32 v21, v11
	ds_store_b32 v20, v12
.LBB2_146:                              ;   in Loop: Header=BB2_6 Depth=1
	s_or_b32 exec_lo, exec_lo, s6
	ds_load_b32 v11, v21 offset:64
	s_waitcnt lgkmcnt(1)
	ds_load_b32 v12, v20 offset:64
	s_mov_b32 s57, exec_lo
	s_waitcnt lgkmcnt(1)
	v_cmp_lt_f32_e64 s7, v7, v11
	v_cmpx_nlt_f32_e32 v7, v11
	s_cbranch_execz .LBB2_148
; %bb.147:                              ;   in Loop: Header=BB2_6 Depth=1
	v_cmp_eq_f32_e32 vcc_lo, v7, v11
	s_waitcnt lgkmcnt(0)
	v_cmp_gt_i32_e64 s6, v2, v12
	s_and_not1_b32 s7, s7, exec_lo
	s_delay_alu instid0(VALU_DEP_1) | instskip(NEXT) | instid1(SALU_CYCLE_1)
	s_and_b32 s6, vcc_lo, s6
	s_and_b32 s6, s6, exec_lo
	s_delay_alu instid0(SALU_CYCLE_1)
	s_or_b32 s7, s7, s6
.LBB2_148:                              ;   in Loop: Header=BB2_6 Depth=1
	s_or_b32 exec_lo, exec_lo, s57
	s_delay_alu instid0(VALU_DEP_2)
	s_and_saveexec_b32 s6, s7
	s_cbranch_execz .LBB2_150
; %bb.149:                              ;   in Loop: Header=BB2_6 Depth=1
	s_waitcnt lgkmcnt(0)
	v_dual_mov_b32 v7, v11 :: v_dual_mov_b32 v2, v12
	ds_store_b32 v21, v11
	ds_store_b32 v20, v12
.LBB2_150:                              ;   in Loop: Header=BB2_6 Depth=1
	s_or_b32 exec_lo, exec_lo, s6
	ds_load_b32 v11, v21 offset:32
	s_waitcnt lgkmcnt(1)
	;; [unrolled: 30-line block ×5, first 2 shown]
	ds_load_b32 v12, v20 offset:4
	s_waitcnt lgkmcnt(1)
	v_cmp_eq_f32_e32 vcc_lo, v7, v11
	s_waitcnt lgkmcnt(0)
	v_cmp_gt_i32_e64 s6, v2, v12
	v_cmp_lt_f32_e64 s7, v7, v11
	s_delay_alu instid0(VALU_DEP_2)
	s_and_b32 s6, vcc_lo, s6
	s_delay_alu instid0(VALU_DEP_1) | instid1(SALU_CYCLE_1)
	s_or_b32 s6, s7, s6
	s_delay_alu instid0(SALU_CYCLE_1)
	s_and_b32 exec_lo, exec_lo, s6
	s_cbranch_execz .LBB2_164
; %bb.163:                              ;   in Loop: Header=BB2_6 Depth=1
	ds_store_b32 v21, v11
	ds_store_b32 v20, v12
.LBB2_164:                              ;   in Loop: Header=BB2_6 Depth=1
	s_or_b32 exec_lo, exec_lo, s56
.LBB2_165:                              ;   in Loop: Header=BB2_6 Depth=1
	s_and_saveexec_b32 s6, s2
	s_cbranch_execz .LBB2_167
; %bb.166:                              ;   in Loop: Header=BB2_6 Depth=1
	ds_load_b32 v2, v3 offset:2064
	ds_load_b32 v7, v3 offset:1024
	s_waitcnt lgkmcnt(0)
	v_cmp_lt_f32_e32 vcc_lo, v2, v7
	v_cndmask_b32_e32 v2, v2, v7, vcc_lo
	ds_store_b32 v3, v2 offset:2064
.LBB2_167:                              ;   in Loop: Header=BB2_6 Depth=1
	s_or_b32 exec_lo, exec_lo, s6
.LBB2_168:                              ;   in Loop: Header=BB2_6 Depth=1
	s_waitcnt lgkmcnt(0)
	s_barrier
	buffer_gl0_inv
	ds_load_b64 v[11:12], v3 offset:2056
	ds_load_b32 v7, v3 offset:2064
	s_waitcnt lgkmcnt(0)
	v_div_scale_f32 v2, null, v7, v7, v12
	s_delay_alu instid0(VALU_DEP_1) | instskip(SKIP_2) | instid1(VALU_DEP_1)
	v_rcp_f32_e32 v13, v2
	s_waitcnt_depctr 0xfff
	v_fma_f32 v14, -v2, v13, 1.0
	v_fmac_f32_e32 v13, v14, v13
	v_div_scale_f32 v14, vcc_lo, v12, v7, v12
	s_delay_alu instid0(VALU_DEP_1) | instskip(NEXT) | instid1(VALU_DEP_1)
	v_mul_f32_e32 v15, v14, v13
	v_fma_f32 v16, -v2, v15, v14
	s_delay_alu instid0(VALU_DEP_1) | instskip(NEXT) | instid1(VALU_DEP_1)
	v_fmac_f32_e32 v15, v16, v13
	v_fma_f32 v2, -v2, v15, v14
	s_delay_alu instid0(VALU_DEP_1) | instskip(SKIP_1) | instid1(VALU_DEP_2)
	v_div_fmas_f32 v2, v2, v13, v15
	v_mul_f32_e32 v13, 0x3f23f07b, v12
	v_div_fixup_f32 v2, v2, v7, v12
	s_delay_alu instid0(VALU_DEP_1) | instskip(NEXT) | instid1(VALU_DEP_1)
	v_mul_f32_e32 v2, v13, v2
	v_cmp_ge_f32_e32 vcc_lo, v11, v2
	s_cbranch_vccnz .LBB2_175
; %bb.169:                              ;   in Loop: Header=BB2_6 Depth=1
	ds_load_b32 v2, v3 offset:2048
	v_mul_f32_e32 v7, 0x3f23f07b, v7
	s_mov_b32 s56, 0
	s_mov_b32 s6, exec_lo
	s_waitcnt lgkmcnt(0)
	v_dual_mov_b32 v14, 2 :: v_dual_add_nc_u32 v11, v2, v10
	s_delay_alu instid0(VALU_DEP_1) | instskip(NEXT) | instid1(VALU_DEP_1)
	v_ashrrev_i32_e32 v12, 31, v11
	v_lshlrev_b64 v[11:12], 2, v[11:12]
	s_delay_alu instid0(VALU_DEP_1) | instskip(NEXT) | instid1(VALU_DEP_2)
	v_add_co_u32 v11, vcc_lo, s20, v11
	v_add_co_ci_u32_e32 v12, vcc_lo, s21, v12, vcc_lo
	global_load_b32 v11, v[11:12], off
	s_waitcnt vmcnt(0)
	v_cmpx_ge_f32_e64 |v11|, v7
	s_cbranch_execz .LBB2_174
; %bb.170:                              ;   in Loop: Header=BB2_6 Depth=1
	s_and_saveexec_b32 s7, s5
	s_cbranch_execz .LBB2_173
; %bb.171:                              ;   in Loop: Header=BB2_6 Depth=1
	v_add3_u32 v11, v0, v6, v1
	v_add3_u32 v13, v0, v10, v1
	v_mov_b32_e32 v7, v0
	s_delay_alu instid0(VALU_DEP_3) | instskip(NEXT) | instid1(VALU_DEP_3)
	v_ashrrev_i32_e32 v12, 31, v11
	v_ashrrev_i32_e32 v14, 31, v13
	s_delay_alu instid0(VALU_DEP_2) | instskip(NEXT) | instid1(VALU_DEP_2)
	v_lshlrev_b64 v[10:11], 2, v[11:12]
	v_lshlrev_b64 v[12:13], 2, v[13:14]
	s_delay_alu instid0(VALU_DEP_2) | instskip(NEXT) | instid1(VALU_DEP_3)
	v_add_co_u32 v10, vcc_lo, s50, v10
	v_add_co_ci_u32_e32 v11, vcc_lo, s51, v11, vcc_lo
	s_delay_alu instid0(VALU_DEP_3) | instskip(NEXT) | instid1(VALU_DEP_4)
	v_add_co_u32 v12, vcc_lo, s50, v12
	v_add_co_ci_u32_e32 v13, vcc_lo, s51, v13, vcc_lo
	.p2align	6
.LBB2_172:                              ;   Parent Loop BB2_6 Depth=1
                                        ; =>  This Inner Loop Header: Depth=2
	global_load_b32 v14, v[12:13], off
	v_add_nc_u32_e32 v7, 0x100, v7
	v_add_co_u32 v12, vcc_lo, 0x400, v12
	v_add_co_ci_u32_e32 v13, vcc_lo, 0, v13, vcc_lo
	s_delay_alu instid0(VALU_DEP_3) | instskip(SKIP_4) | instid1(VALU_DEP_1)
	v_cmp_ge_i32_e32 vcc_lo, v7, v36
	s_or_b32 s56, vcc_lo, s56
	s_waitcnt vmcnt(0)
	global_store_b32 v[10:11], v14, off
	v_add_co_u32 v10, s5, 0x400, v10
	v_add_co_ci_u32_e64 v11, s5, 0, v11, s5
	s_and_not1_b32 exec_lo, exec_lo, s56
	s_cbranch_execnz .LBB2_172
.LBB2_173:                              ;   in Loop: Header=BB2_6 Depth=1
	s_or_b32 exec_lo, exec_lo, s7
	v_mov_b32_e32 v14, 1
	s_mov_b32 s56, exec_lo
	s_waitcnt_vscnt null, 0x0
	s_barrier
	buffer_gl0_inv
.LBB2_174:                              ;   in Loop: Header=BB2_6 Depth=1
	s_or_b32 exec_lo, exec_lo, s6
	s_branch .LBB2_176
.LBB2_175:                              ;   in Loop: Header=BB2_6 Depth=1
	v_mov_b32_e32 v14, 1
	v_mov_b32_e32 v2, v1
	s_mov_b32 s56, -1
.LBB2_176:                              ;   in Loop: Header=BB2_6 Depth=1
	s_delay_alu instid0(VALU_DEP_2) | instskip(SKIP_1) | instid1(VALU_DEP_1)
	v_add_nc_u32_e32 v7, v14, v1
	s_mov_b32 s57, exec_lo
	v_add_nc_u32_e32 v15, -1, v7
	s_delay_alu instid0(VALU_DEP_1)
	v_cmpx_ne_u32_e64 v2, v15
	s_cbranch_execz .LBB2_192
; %bb.177:                              ;   in Loop: Header=BB2_6 Depth=1
	s_and_saveexec_b32 s5, s2
	s_cbranch_execz .LBB2_179
; %bb.178:                              ;   in Loop: Header=BB2_6 Depth=1
	v_mul_lo_u32 v10, v15, s45
	s_delay_alu instid0(VALU_DEP_1) | instskip(NEXT) | instid1(VALU_DEP_1)
	v_ashrrev_i32_e32 v11, 31, v10
	v_lshlrev_b64 v[10:11], 2, v[10:11]
	s_delay_alu instid0(VALU_DEP_1) | instskip(NEXT) | instid1(VALU_DEP_2)
	v_add_co_u32 v10, vcc_lo, s16, v10
	v_add_co_ci_u32_e32 v11, vcc_lo, s33, v11, vcc_lo
	global_load_b32 v12, v[10:11], off
	v_mul_lo_u32 v10, v2, s45
	s_delay_alu instid0(VALU_DEP_1) | instskip(NEXT) | instid1(VALU_DEP_1)
	v_ashrrev_i32_e32 v11, 31, v10
	v_lshlrev_b64 v[10:11], 2, v[10:11]
	s_delay_alu instid0(VALU_DEP_1) | instskip(NEXT) | instid1(VALU_DEP_2)
	v_add_co_u32 v10, vcc_lo, s16, v10
	v_add_co_ci_u32_e32 v11, vcc_lo, s33, v11, vcc_lo
	s_waitcnt vmcnt(0)
	global_store_b32 v[10:11], v12, off
.LBB2_179:                              ;   in Loop: Header=BB2_6 Depth=1
	s_or_b32 exec_lo, exec_lo, s5
	v_sub_nc_u32_e32 v16, v2, v7
	s_mov_b32 s6, exec_lo
	s_delay_alu instid0(VALU_DEP_1)
	v_cmpx_gt_i32_e64 v16, v0
	s_cbranch_execz .LBB2_182
; %bb.180:                              ;   in Loop: Header=BB2_6 Depth=1
	v_add3_u32 v12, v0, v14, v1
	s_mov_b32 s7, 0
	s_delay_alu instid0(VALU_DEP_1)
	v_mad_u64_u32 v[10:11], null, s17, v12, v[2:3]
	v_mad_u64_u32 v[12:13], null, v15, s17, v[7:8]
	v_mov_b32_e32 v13, v0
	.p2align	6
.LBB2_181:                              ;   Parent Loop BB2_6 Depth=1
                                        ; =>  This Inner Loop Header: Depth=2
	s_delay_alu instid0(VALU_DEP_1) | instskip(NEXT) | instid1(VALU_DEP_4)
	v_add_nc_u32_e32 v17, v12, v13
	v_ashrrev_i32_e32 v11, 31, v10
	v_add_nc_u32_e32 v13, 0x100, v13
	s_delay_alu instid0(VALU_DEP_3) | instskip(NEXT) | instid1(VALU_DEP_1)
	v_ashrrev_i32_e32 v18, 31, v17
	v_lshlrev_b64 v[17:18], 2, v[17:18]
	s_delay_alu instid0(VALU_DEP_1) | instskip(NEXT) | instid1(VALU_DEP_2)
	v_add_co_u32 v17, vcc_lo, s16, v17
	v_add_co_ci_u32_e32 v18, vcc_lo, s33, v18, vcc_lo
	v_cmp_ge_i32_e32 vcc_lo, v13, v16
	global_load_b32 v19, v[17:18], off
	v_lshlrev_b64 v[17:18], 2, v[10:11]
	v_add_nc_u32_e32 v10, s8, v10
	s_or_b32 s7, vcc_lo, s7
	s_delay_alu instid0(VALU_DEP_2) | instskip(NEXT) | instid1(VALU_DEP_1)
	v_add_co_u32 v17, s5, s16, v17
	v_add_co_ci_u32_e64 v18, s5, s33, v18, s5
	s_waitcnt vmcnt(0)
	global_store_b32 v[17:18], v19, off
	s_and_not1_b32 exec_lo, exec_lo, s7
	s_cbranch_execnz .LBB2_181
.LBB2_182:                              ;   in Loop: Header=BB2_6 Depth=1
	s_or_b32 exec_lo, exec_lo, s6
	v_xad_u32 v12, v2, -1, s18
	s_mov_b32 s6, exec_lo
	s_delay_alu instid0(VALU_DEP_1)
	v_cmpx_gt_i32_e64 v12, v0
	s_cbranch_execz .LBB2_185
; %bb.183:                              ;   in Loop: Header=BB2_6 Depth=1
	v_mul_lo_u32 v13, v15, s17
	v_mad_u64_u32 v[10:11], null, s45, v2, 1
	s_mov_b32 s7, 0
	s_delay_alu instid0(VALU_DEP_2)
	v_add3_u32 v11, v2, v13, 1
	v_mov_b32_e32 v13, v0
	.p2align	6
.LBB2_184:                              ;   Parent Loop BB2_6 Depth=1
                                        ; =>  This Inner Loop Header: Depth=2
	s_delay_alu instid0(VALU_DEP_1) | instskip(NEXT) | instid1(VALU_DEP_1)
	v_add_nc_u32_e32 v15, v11, v13
	v_ashrrev_i32_e32 v16, 31, v15
	s_delay_alu instid0(VALU_DEP_1) | instskip(NEXT) | instid1(VALU_DEP_1)
	v_lshlrev_b64 v[15:16], 2, v[15:16]
	v_add_co_u32 v15, vcc_lo, s16, v15
	s_delay_alu instid0(VALU_DEP_2) | instskip(SKIP_3) | instid1(VALU_DEP_2)
	v_add_co_ci_u32_e32 v16, vcc_lo, s33, v16, vcc_lo
	global_load_b32 v17, v[15:16], off
	v_add_nc_u32_e32 v15, v10, v13
	v_add_nc_u32_e32 v13, 0x100, v13
	v_ashrrev_i32_e32 v16, 31, v15
	s_delay_alu instid0(VALU_DEP_2) | instskip(NEXT) | instid1(VALU_DEP_2)
	v_cmp_ge_i32_e32 vcc_lo, v13, v12
	v_lshlrev_b64 v[15:16], 2, v[15:16]
	s_or_b32 s7, vcc_lo, s7
	s_delay_alu instid0(VALU_DEP_1) | instskip(NEXT) | instid1(VALU_DEP_1)
	v_add_co_u32 v15, s5, s16, v15
	v_add_co_ci_u32_e64 v16, s5, s33, v16, s5
	s_waitcnt vmcnt(0)
	global_store_b32 v[15:16], v17, off
	s_and_not1_b32 exec_lo, exec_lo, s7
	s_cbranch_execnz .LBB2_184
.LBB2_185:                              ;   in Loop: Header=BB2_6 Depth=1
	s_or_b32 exec_lo, exec_lo, s6
	s_delay_alu instid0(SALU_CYCLE_1)
	s_mov_b32 s5, exec_lo
	s_waitcnt_vscnt null, 0x0
	s_barrier
	buffer_gl0_inv
	v_cmpx_gt_u32_e64 v1, v0
	s_cbranch_execz .LBB2_188
; %bb.186:                              ;   in Loop: Header=BB2_6 Depth=1
	v_ashrrev_i32_e32 v10, 31, v7
	v_dual_mov_b32 v11, v31 :: v_dual_mov_b32 v12, v0
	s_mov_b32 s6, 0
	.p2align	6
.LBB2_187:                              ;   Parent Loop BB2_6 Depth=1
                                        ; =>  This Inner Loop Header: Depth=2
	s_delay_alu instid0(VALU_DEP_1) | instskip(SKIP_3) | instid1(VALU_DEP_4)
	v_add_nc_u32_e32 v15, v2, v11
	v_ashrrev_i32_e32 v13, 31, v11
	v_add_co_u32 v17, vcc_lo, v11, v7
	v_add_nc_u32_e32 v12, 0x100, v12
	v_ashrrev_i32_e32 v16, 31, v15
	s_delay_alu instid0(VALU_DEP_4) | instskip(SKIP_1) | instid1(VALU_DEP_3)
	v_add_co_ci_u32_e32 v18, vcc_lo, v13, v10, vcc_lo
	v_add_nc_u32_e32 v11, s8, v11
	v_lshlrev_b64 v[15:16], 2, v[15:16]
	s_delay_alu instid0(VALU_DEP_3) | instskip(NEXT) | instid1(VALU_DEP_2)
	v_lshlrev_b64 v[17:18], 2, v[17:18]
	v_add_co_u32 v15, vcc_lo, s16, v15
	s_delay_alu instid0(VALU_DEP_3) | instskip(NEXT) | instid1(VALU_DEP_3)
	v_add_co_ci_u32_e32 v16, vcc_lo, s33, v16, vcc_lo
	v_add_co_u32 v17, vcc_lo, s48, v17
	s_delay_alu instid0(VALU_DEP_4)
	v_add_co_ci_u32_e32 v18, vcc_lo, s49, v18, vcc_lo
	v_cmp_ge_u32_e32 vcc_lo, v12, v1
	s_clause 0x1
	global_load_b32 v13, v[15:16], off
	global_load_b32 v19, v[17:18], off
	s_waitcnt vmcnt(1)
	global_store_b32 v[17:18], v13, off
	s_waitcnt vmcnt(0)
	global_store_b32 v[15:16], v19, off
	s_or_b32 s6, vcc_lo, s6
	s_delay_alu instid0(SALU_CYCLE_1)
	s_and_not1_b32 exec_lo, exec_lo, s6
	s_cbranch_execnz .LBB2_187
.LBB2_188:                              ;   in Loop: Header=BB2_6 Depth=1
	s_or_b32 exec_lo, exec_lo, s5
	v_cmp_gt_u32_e32 vcc_lo, v7, v0
	s_and_b32 exec_lo, exec_lo, vcc_lo
	s_cbranch_execz .LBB2_191
; %bb.189:                              ;   in Loop: Header=BB2_6 Depth=1
	v_add_co_u32 v11, vcc_lo, v26, v14
	v_add_co_ci_u32_e32 v13, vcc_lo, 0, v32, vcc_lo
	v_add_nc_u32_e32 v10, v26, v2
	s_delay_alu instid0(VALU_DEP_3) | instskip(NEXT) | instid1(VALU_DEP_3)
	v_add_co_u32 v12, vcc_lo, v11, v1
	v_add_co_ci_u32_e32 v13, vcc_lo, 0, v13, vcc_lo
	s_delay_alu instid0(VALU_DEP_3) | instskip(SKIP_2) | instid1(VALU_DEP_3)
	v_ashrrev_i32_e32 v11, 31, v10
	v_mov_b32_e32 v14, v0
	s_mov_b32 s5, 0
	v_lshlrev_b64 v[12:13], 2, v[12:13]
	s_mov_b64 s[6:7], s[20:21]
	v_lshlrev_b64 v[10:11], 2, v[10:11]
	s_delay_alu instid0(VALU_DEP_2) | instskip(NEXT) | instid1(VALU_DEP_3)
	v_add_co_u32 v12, vcc_lo, v12, -4
	v_add_co_ci_u32_e32 v13, vcc_lo, -1, v13, vcc_lo
	.p2align	6
.LBB2_190:                              ;   Parent Loop BB2_6 Depth=1
                                        ; =>  This Inner Loop Header: Depth=2
	s_delay_alu instid0(VALU_DEP_3) | instskip(NEXT) | instid1(VALU_DEP_4)
	v_add_co_u32 v15, vcc_lo, s6, v10
	v_add_co_ci_u32_e32 v16, vcc_lo, s7, v11, vcc_lo
	s_delay_alu instid0(VALU_DEP_4) | instskip(NEXT) | instid1(VALU_DEP_4)
	v_add_co_u32 v17, vcc_lo, s6, v12
	v_add_co_ci_u32_e32 v18, vcc_lo, s7, v13, vcc_lo
	v_add_nc_u32_e32 v14, 0x100, v14
	s_clause 0x1
	global_load_b32 v19, v[15:16], off
	global_load_b32 v36, v[17:18], off
	s_add_u32 s6, s6, s38
	s_addc_u32 s7, s7, s39
	v_cmp_ge_u32_e32 vcc_lo, v14, v7
	s_waitcnt vmcnt(1)
	global_store_b32 v[17:18], v19, off
	s_waitcnt vmcnt(0)
	global_store_b32 v[15:16], v36, off
	s_or_b32 s5, vcc_lo, s5
	s_delay_alu instid0(SALU_CYCLE_1)
	s_and_not1_b32 exec_lo, exec_lo, s5
	s_cbranch_execnz .LBB2_190
.LBB2_191:                              ;   in Loop: Header=BB2_6 Depth=1
	s_waitcnt_vscnt null, 0x0
	s_barrier
	buffer_gl0_inv
.LBB2_192:                              ;   in Loop: Header=BB2_6 Depth=1
	s_or_b32 exec_lo, exec_lo, s57
	s_xor_b32 s6, s56, -1
                                        ; implicit-def: $sgpr7
                                        ; implicit-def: $sgpr5
	s_delay_alu instid0(SALU_CYCLE_1) | instskip(NEXT) | instid1(SALU_CYCLE_1)
	s_and_saveexec_b32 s56, s6
	s_xor_b32 s6, exec_lo, s56
	s_cbranch_execz .LBB2_200
; %bb.193:                              ;   in Loop: Header=BB2_6 Depth=1
	s_mov_b32 s7, exec_lo
	v_cmpx_gt_i32_e64 s46, v1
	s_cbranch_execz .LBB2_197
; %bb.194:                              ;   in Loop: Header=BB2_6 Depth=1
	v_add_nc_u32_e32 v7, v1, v23
	s_delay_alu instid0(VALU_DEP_1)
	v_cmp_gt_i32_e32 vcc_lo, s18, v7
	s_and_b32 exec_lo, exec_lo, vcc_lo
	s_cbranch_execz .LBB2_197
; %bb.195:                              ;   in Loop: Header=BB2_6 Depth=1
	v_mul_lo_u32 v14, v35, s18
	v_add_nc_u32_e32 v12, v6, v35
	s_mov_b32 s56, 0
	s_delay_alu instid0(VALU_DEP_1) | instskip(NEXT) | instid1(VALU_DEP_3)
	v_ashrrev_i32_e32 v13, 31, v12
	v_add_nc_u32_e32 v10, v14, v35
	v_add_nc_u32_e32 v14, v7, v14
	s_delay_alu instid0(VALU_DEP_3) | instskip(NEXT) | instid1(VALU_DEP_3)
	v_lshlrev_b64 v[12:13], 2, v[12:13]
	v_ashrrev_i32_e32 v11, 31, v10
	s_delay_alu instid0(VALU_DEP_1) | instskip(NEXT) | instid1(VALU_DEP_1)
	v_lshlrev_b64 v[10:11], 2, v[10:11]
	v_add_co_u32 v10, vcc_lo, s20, v10
	s_delay_alu instid0(VALU_DEP_2)
	v_add_co_ci_u32_e32 v11, vcc_lo, s21, v11, vcc_lo
	v_add_co_u32 v12, vcc_lo, s20, v12
	v_add_co_ci_u32_e32 v13, vcc_lo, s21, v13, vcc_lo
	s_clause 0x2
	global_load_b32 v10, v[10:11], off
	global_load_b32 v11, v[12:13], off
	;; [unrolled: 1-line block ×3, first 2 shown]
	s_waitcnt vmcnt(1)
	v_div_scale_f32 v13, null, v11, v11, v10
	s_waitcnt vmcnt(0)
	v_div_scale_f32 v15, null, v11, v11, v12
	v_div_scale_f32 v34, vcc_lo, v10, v11, v10
	s_delay_alu instid0(VALU_DEP_3) | instskip(NEXT) | instid1(VALU_DEP_2)
	v_rcp_f32_e32 v16, v13
	v_rcp_f32_e32 v17, v15
	s_waitcnt_depctr 0xfff
	v_fma_f32 v18, -v13, v16, 1.0
	v_fma_f32 v19, -v15, v17, 1.0
	s_delay_alu instid0(VALU_DEP_2) | instskip(SKIP_1) | instid1(VALU_DEP_3)
	v_fmac_f32_e32 v16, v18, v16
	v_div_scale_f32 v18, s5, v12, v11, v12
	v_fmac_f32_e32 v17, v19, v17
	s_delay_alu instid0(VALU_DEP_3) | instskip(NEXT) | instid1(VALU_DEP_2)
	v_mul_f32_e32 v19, v34, v16
	v_mul_f32_e32 v36, v18, v17
	s_delay_alu instid0(VALU_DEP_2) | instskip(NEXT) | instid1(VALU_DEP_2)
	v_fma_f32 v37, -v13, v19, v34
	v_fma_f32 v38, -v15, v36, v18
	s_delay_alu instid0(VALU_DEP_1) | instskip(NEXT) | instid1(VALU_DEP_1)
	v_dual_fmac_f32 v19, v37, v16 :: v_dual_fmac_f32 v36, v38, v17
	v_fma_f32 v13, -v13, v19, v34
	s_delay_alu instid0(VALU_DEP_2) | instskip(NEXT) | instid1(VALU_DEP_2)
	v_fma_f32 v15, -v15, v36, v18
	v_div_fmas_f32 v13, v13, v16, v19
	s_mov_b32 vcc_lo, s5
	s_delay_alu instid0(VALU_DEP_2) | instskip(SKIP_1) | instid1(VALU_DEP_3)
	v_div_fmas_f32 v15, v15, v17, v36
	v_mul_lo_u32 v36, s45, v1
	v_div_fixup_f32 v18, v13, v11, v10
	s_delay_alu instid0(VALU_DEP_3) | instskip(SKIP_2) | instid1(VALU_DEP_3)
	v_div_fixup_f32 v19, v15, v11, v12
	v_add3_u32 v12, v23, v6, v1
	v_ashrrev_i32_e32 v15, 31, v14
	v_fma_f32 v10, v18, v19, -1.0
	s_delay_alu instid0(VALU_DEP_3) | instskip(NEXT) | instid1(VALU_DEP_3)
	v_ashrrev_i32_e32 v13, 31, v12
	v_lshlrev_b64 v[14:15], 2, v[14:15]
	s_delay_alu instid0(VALU_DEP_3) | instskip(NEXT) | instid1(VALU_DEP_1)
	v_mul_f32_e32 v34, v11, v10
	v_div_scale_f32 v38, null, v34, v34, 1.0
	v_div_scale_f32 v40, vcc_lo, 1.0, v34, 1.0
	s_delay_alu instid0(VALU_DEP_2) | instskip(SKIP_2) | instid1(VALU_DEP_1)
	v_rcp_f32_e32 v39, v38
	s_waitcnt_depctr 0xfff
	v_fma_f32 v10, -v38, v39, 1.0
	v_dual_fmac_f32 v39, v10, v39 :: v_dual_add_nc_u32 v10, v23, v36
	s_delay_alu instid0(VALU_DEP_1) | instskip(NEXT) | instid1(VALU_DEP_2)
	v_mul_f32_e32 v41, v40, v39
	v_ashrrev_i32_e32 v11, 31, v10
	s_delay_alu instid0(VALU_DEP_2) | instskip(NEXT) | instid1(VALU_DEP_1)
	v_fma_f32 v16, -v38, v41, v40
	v_fmac_f32_e32 v41, v16, v39
	s_delay_alu instid0(VALU_DEP_3) | instskip(SKIP_2) | instid1(VALU_DEP_4)
	v_lshlrev_b64 v[16:17], 2, v[10:11]
	v_add_nc_u32_e32 v10, v33, v36
	v_lshlrev_b64 v[36:37], 2, v[12:13]
	v_fma_f32 v11, -v38, v41, v40
	s_delay_alu instid0(VALU_DEP_4) | instskip(NEXT) | instid1(VALU_DEP_1)
	v_add_co_u32 v12, s5, s52, v16
	v_add_co_ci_u32_e64 v13, s5, s53, v17, s5
	s_delay_alu instid0(VALU_DEP_3) | instskip(SKIP_3) | instid1(VALU_DEP_4)
	v_div_fmas_f32 v11, v11, v39, v41
	v_add_co_u32 v14, vcc_lo, s50, v14
	v_add_co_ci_u32_e32 v15, vcc_lo, s51, v15, vcc_lo
	v_add_co_u32 v16, vcc_lo, s50, v36
	v_div_fixup_f32 v34, v11, v34, 1.0
	v_add_co_ci_u32_e32 v17, vcc_lo, s51, v37, vcc_lo
	s_set_inst_prefetch_distance 0x1
	.p2align	6
.LBB2_196:                              ;   Parent Loop BB2_6 Depth=1
                                        ; =>  This Inner Loop Header: Depth=2
	global_load_b32 v11, v[16:17], off
	global_load_b32 v36, v[14:15], off
	v_add_nc_u32_e32 v7, 0x100, v7
	s_delay_alu instid0(VALU_DEP_1) | instskip(SKIP_3) | instid1(VALU_DEP_1)
	v_cmp_le_i32_e32 vcc_lo, s18, v7
	s_or_b32 s56, vcc_lo, s56
	s_waitcnt vmcnt(0)
	v_fma_f32 v11, v18, v11, -v36
	v_mul_f32_e32 v11, v34, v11
	global_store_b32 v[12:13], v11, off
	global_load_b32 v38, v[14:15], off
	global_load_b32 v39, v[16:17], off
	v_ashrrev_i32_e32 v11, 31, v10
	s_delay_alu instid0(VALU_DEP_1) | instskip(SKIP_1) | instid1(VALU_DEP_2)
	v_lshlrev_b64 v[36:37], 2, v[10:11]
	v_add_nc_u32_e32 v10, 0x100, v10
	v_add_co_u32 v36, s5, s16, v36
	s_delay_alu instid0(VALU_DEP_1) | instskip(SKIP_1) | instid1(VALU_DEP_1)
	v_add_co_ci_u32_e64 v37, s5, s33, v37, s5
	v_add_co_u32 v12, s5, 0x400, v12
	v_add_co_ci_u32_e64 v13, s5, 0, v13, s5
	v_add_co_u32 v14, s5, 0x400, v14
	s_delay_alu instid0(VALU_DEP_1) | instskip(SKIP_1) | instid1(VALU_DEP_1)
	v_add_co_ci_u32_e64 v15, s5, 0, v15, s5
	v_add_co_u32 v16, s5, 0x400, v16
	v_add_co_ci_u32_e64 v17, s5, 0, v17, s5
	s_waitcnt vmcnt(0)
	v_fma_f32 v11, v19, v38, -v39
	s_delay_alu instid0(VALU_DEP_1)
	v_mul_f32_e32 v11, v34, v11
	global_store_b32 v[36:37], v11, off
	s_and_not1_b32 exec_lo, exec_lo, s56
	s_cbranch_execnz .LBB2_196
.LBB2_197:                              ;   in Loop: Header=BB2_6 Depth=1
	s_set_inst_prefetch_distance 0x2
	s_or_b32 exec_lo, exec_lo, s7
	s_and_saveexec_b32 s5, s2
	s_cbranch_execz .LBB2_199
; %bb.198:                              ;   in Loop: Header=BB2_6 Depth=1
	global_load_b32 v13, v[8:9], off
	v_mul_lo_u32 v7, v1, s17
	v_add_nc_u32_e32 v9, v6, v35
	v_add_co_u32 v6, vcc_lo, s16, v4
	v_add_co_ci_u32_e32 v14, vcc_lo, s33, v5, vcc_lo
	s_delay_alu instid0(VALU_DEP_3) | instskip(SKIP_1) | instid1(VALU_DEP_1)
	v_ashrrev_i32_e32 v10, 31, v9
	v_ashrrev_i32_e32 v8, 31, v7
	v_lshlrev_b64 v[11:12], 2, v[7:8]
	s_delay_alu instid0(VALU_DEP_3) | instskip(NEXT) | instid1(VALU_DEP_2)
	v_lshlrev_b64 v[8:9], 2, v[9:10]
	v_add_co_u32 v10, vcc_lo, v6, v11
	s_delay_alu instid0(VALU_DEP_3) | instskip(NEXT) | instid1(VALU_DEP_3)
	v_add_co_ci_u32_e32 v11, vcc_lo, v14, v12, vcc_lo
	v_add_co_u32 v8, vcc_lo, s20, v8
	s_delay_alu instid0(VALU_DEP_4) | instskip(SKIP_1) | instid1(VALU_DEP_1)
	v_add_co_ci_u32_e32 v9, vcc_lo, s21, v9, vcc_lo
	v_add_nc_u32_e32 v6, v35, v7
	v_ashrrev_i32_e32 v7, 31, v6
	s_delay_alu instid0(VALU_DEP_1) | instskip(NEXT) | instid1(VALU_DEP_1)
	v_lshlrev_b64 v[6:7], 2, v[6:7]
	v_add_co_u32 v6, vcc_lo, s16, v6
	s_delay_alu instid0(VALU_DEP_2) | instskip(SKIP_4) | instid1(VALU_DEP_1)
	v_add_co_ci_u32_e32 v7, vcc_lo, s33, v7, vcc_lo
	s_waitcnt vmcnt(0)
	global_store_b32 v[10:11], v13, off
	global_load_b32 v10, v[8:9], off
	v_mul_lo_u32 v8, v35, s47
	v_ashrrev_i32_e32 v9, 31, v8
	s_delay_alu instid0(VALU_DEP_1) | instskip(NEXT) | instid1(VALU_DEP_1)
	v_lshlrev_b64 v[8:9], 2, v[8:9]
	v_add_co_u32 v8, vcc_lo, s20, v8
	s_delay_alu instid0(VALU_DEP_2) | instskip(SKIP_4) | instid1(VALU_DEP_1)
	v_add_co_ci_u32_e32 v9, vcc_lo, s21, v9, vcc_lo
	s_waitcnt vmcnt(0)
	global_store_b32 v[6:7], v10, off
	global_load_b32 v8, v[8:9], off
	v_mul_lo_u32 v6, v35, s45
	v_ashrrev_i32_e32 v7, 31, v6
	s_delay_alu instid0(VALU_DEP_1) | instskip(NEXT) | instid1(VALU_DEP_1)
	v_lshlrev_b64 v[6:7], 2, v[6:7]
	v_add_co_u32 v6, vcc_lo, s16, v6
	s_delay_alu instid0(VALU_DEP_2)
	v_add_co_ci_u32_e32 v7, vcc_lo, s33, v7, vcc_lo
	s_waitcnt vmcnt(0)
	global_store_b32 v[6:7], v8, off
.LBB2_199:                              ;   in Loop: Header=BB2_6 Depth=1
	s_or_b32 exec_lo, exec_lo, s5
	s_mov_b32 s5, 0
	s_mov_b32 s7, 2
	s_waitcnt_vscnt null, 0x0
	s_barrier
	buffer_gl0_inv
                                        ; implicit-def: $vgpr8_vgpr9
                                        ; implicit-def: $vgpr34
                                        ; implicit-def: $vgpr6_vgpr7
.LBB2_200:                              ;   in Loop: Header=BB2_6 Depth=1
	s_or_saveexec_b32 s6, s6
	v_mov_b32_e32 v7, s7
	s_xor_b32 exec_lo, exec_lo, s6
	s_cbranch_execz .LBB2_207
; %bb.201:                              ;   in Loop: Header=BB2_6 Depth=1
	global_load_b32 v9, v[8:9], off
	s_and_saveexec_b32 s7, s2
	s_cbranch_execz .LBB2_203
; %bb.202:                              ;   in Loop: Header=BB2_6 Depth=1
	v_mul_lo_u32 v7, v1, s45
	s_delay_alu instid0(VALU_DEP_1) | instskip(NEXT) | instid1(VALU_DEP_1)
	v_ashrrev_i32_e32 v8, 31, v7
	v_lshlrev_b64 v[7:8], 2, v[7:8]
	s_delay_alu instid0(VALU_DEP_1) | instskip(NEXT) | instid1(VALU_DEP_2)
	v_add_co_u32 v7, vcc_lo, s16, v7
	v_add_co_ci_u32_e32 v8, vcc_lo, s33, v8, vcc_lo
	s_waitcnt vmcnt(0)
	global_store_b32 v[7:8], v9, off
.LBB2_203:                              ;   in Loop: Header=BB2_6 Depth=1
	s_or_b32 exec_lo, exec_lo, s7
	s_and_saveexec_b32 s7, s4
	s_cbranch_execz .LBB2_206
; %bb.204:                              ;   in Loop: Header=BB2_6 Depth=1
	s_waitcnt vmcnt(0)
	v_div_scale_f32 v7, null, v9, v9, 1.0
	v_div_scale_f32 v11, vcc_lo, 1.0, v9, 1.0
	v_add3_u32 v6, v6, v1, 1
	s_delay_alu instid0(VALU_DEP_3) | instskip(SKIP_3) | instid1(VALU_DEP_1)
	v_rcp_f32_e32 v8, v7
	s_mov_b32 s56, 0
	s_waitcnt_depctr 0xfff
	v_fma_f32 v10, -v7, v8, 1.0
	v_fmac_f32_e32 v8, v10, v8
	s_delay_alu instid0(VALU_DEP_1) | instskip(NEXT) | instid1(VALU_DEP_1)
	v_mul_f32_e32 v10, v11, v8
	v_fma_f32 v12, -v7, v10, v11
	s_delay_alu instid0(VALU_DEP_1) | instskip(NEXT) | instid1(VALU_DEP_1)
	v_fmac_f32_e32 v10, v12, v8
	v_fma_f32 v7, -v7, v10, v11
	s_delay_alu instid0(VALU_DEP_1) | instskip(SKIP_1) | instid1(VALU_DEP_2)
	v_div_fmas_f32 v10, v7, v8, v10
	v_mad_u64_u32 v[7:8], null, s45, v1, 1
	v_div_fixup_f32 v8, v10, v9, 1.0
	v_mov_b32_e32 v9, v0
	.p2align	6
.LBB2_205:                              ;   Parent Loop BB2_6 Depth=1
                                        ; =>  This Inner Loop Header: Depth=2
	s_delay_alu instid0(VALU_DEP_1) | instskip(NEXT) | instid1(VALU_DEP_1)
	v_add_nc_u32_e32 v10, v6, v9
	v_ashrrev_i32_e32 v11, 31, v10
	s_delay_alu instid0(VALU_DEP_1) | instskip(NEXT) | instid1(VALU_DEP_1)
	v_lshlrev_b64 v[10:11], 2, v[10:11]
	v_add_co_u32 v10, vcc_lo, s20, v10
	s_delay_alu instid0(VALU_DEP_2) | instskip(SKIP_3) | instid1(VALU_DEP_2)
	v_add_co_ci_u32_e32 v11, vcc_lo, s21, v11, vcc_lo
	global_load_b32 v12, v[10:11], off
	v_add_nc_u32_e32 v10, v7, v9
	v_add_nc_u32_e32 v9, 0x100, v9
	v_ashrrev_i32_e32 v11, 31, v10
	s_delay_alu instid0(VALU_DEP_1) | instskip(NEXT) | instid1(VALU_DEP_1)
	v_lshlrev_b64 v[10:11], 2, v[10:11]
	v_add_co_u32 v10, s4, s16, v10
	s_delay_alu instid0(VALU_DEP_1)
	v_add_co_ci_u32_e64 v11, s4, s33, v11, s4
	s_waitcnt vmcnt(0)
	v_mul_f32_e32 v12, v8, v12
	v_cmp_ge_i32_e32 vcc_lo, v9, v34
	global_store_b32 v[10:11], v12, off
	s_or_b32 s56, vcc_lo, s56
	s_delay_alu instid0(SALU_CYCLE_1)
	s_and_not1_b32 exec_lo, exec_lo, s56
	s_cbranch_execnz .LBB2_205
.LBB2_206:                              ;   in Loop: Header=BB2_6 Depth=1
	s_or_b32 exec_lo, exec_lo, s7
	v_mov_b32_e32 v7, 1
	s_or_b32 s5, s5, exec_lo
	s_waitcnt vmcnt(0)
	s_waitcnt_vscnt null, 0x0
	s_barrier
	buffer_gl0_inv
.LBB2_207:                              ;   in Loop: Header=BB2_6 Depth=1
	s_or_b32 exec_lo, exec_lo, s6
	s_branch .LBB2_211
.LBB2_208:                              ;   in Loop: Header=BB2_6 Depth=1
	ds_load_b32 v2, v3 offset:2052
	s_waitcnt lgkmcnt(0)
	v_readfirstlane_b32 s4, v2
	s_delay_alu instid0(VALU_DEP_1) | instskip(SKIP_1) | instid1(SALU_CYCLE_1)
	s_cmp_eq_u32 s4, 0
	s_cselect_b32 s4, -1, 0
	s_and_b32 s5, s2, s4
	s_delay_alu instid0(SALU_CYCLE_1)
	s_and_saveexec_b32 s4, s5
	s_cbranch_execz .LBB2_210
; %bb.209:                              ;   in Loop: Header=BB2_6 Depth=1
	ds_store_b32 v3, v35 offset:2052
.LBB2_210:                              ;   in Loop: Header=BB2_6 Depth=1
	s_or_b32 exec_lo, exec_lo, s4
	v_dual_mov_b32 v7, 1 :: v_dual_mov_b32 v2, v1
	s_mov_b32 s5, -1
.LBB2_211:                              ;   in Loop: Header=BB2_6 Depth=1
	s_and_saveexec_b32 s4, s2
	s_cbranch_execz .LBB2_4
; %bb.212:                              ;   in Loop: Header=BB2_6 Depth=1
	v_add_co_u32 v4, vcc_lo, s40, v4
	v_add_co_ci_u32_e32 v5, vcc_lo, s41, v5, vcc_lo
	s_xor_b32 s5, s5, -1
	s_delay_alu instid0(SALU_CYCLE_1) | instskip(NEXT) | instid1(SALU_CYCLE_1)
	s_and_saveexec_b32 s6, s5
	s_xor_b32 s5, exec_lo, s6
	s_cbranch_execz .LBB2_214
; %bb.213:                              ;   in Loop: Header=BB2_6 Depth=1
	v_not_b32_e32 v8, v2
                                        ; implicit-def: $vgpr2
	s_delay_alu instid0(VALU_DEP_1)
	v_mov_b32_e32 v9, v8
	global_store_b64 v[4:5], v[8:9], off
                                        ; implicit-def: $vgpr4_vgpr5
.LBB2_214:                              ;   in Loop: Header=BB2_6 Depth=1
	s_and_not1_saveexec_b32 s5, s5
	s_cbranch_execz .LBB2_4
; %bb.215:                              ;   in Loop: Header=BB2_6 Depth=1
	v_add_nc_u32_e32 v2, 1, v2
	global_store_b32 v[4:5], v2, off
	s_branch .LBB2_4
.LBB2_216:
	s_or_b32 exec_lo, exec_lo, s9
	s_and_saveexec_b32 s0, s2
	s_cbranch_execz .LBB2_218
.LBB2_217:
	v_mov_b32_e32 v2, 0
	s_lshl_b64 s[2:3], s[22:23], 2
	s_delay_alu instid0(SALU_CYCLE_1)
	s_add_u32 s4, s12, s2
	s_addc_u32 s5, s13, s3
	ds_load_b32 v3, v2 offset:2052
	s_add_u32 s2, s10, s2
	s_addc_u32 s3, s11, s3
	global_store_b32 v2, v1, s[4:5]
	s_waitcnt lgkmcnt(0)
	global_store_b32 v2, v3, s[2:3]
.LBB2_218:
	s_or_b32 exec_lo, exec_lo, s0
	s_delay_alu instid0(SALU_CYCLE_1)
	s_mov_b32 s8, exec_lo
	v_cmpx_gt_i32_e64 s18, v1
	s_cbranch_execz .LBB2_239
; %bb.219:
	v_ashrrev_i32_e32 v2, 31, v1
	s_add_u32 s6, s24, s30
	s_addc_u32 s7, s25, s31
	s_ashr_i32 s1, s19, 31
	s_mov_b32 s0, s19
	v_lshlrev_b64 v[2:3], 2, v[1:2]
	s_ashr_i32 s5, s18, 31
	s_mov_b32 s4, s18
	s_lshl_b64 s[2:3], s[0:1], 2
	s_lshl_b64 s[4:5], s[4:5], 2
	s_add_u32 s0, s26, s28
	s_addc_u32 s1, s27, s29
	v_add_co_u32 v4, s0, s0, v2
	s_delay_alu instid0(VALU_DEP_1) | instskip(SKIP_1) | instid1(VALU_DEP_1)
	v_add_co_ci_u32_e64 v5, s0, s1, v3, s0
	v_add_co_u32 v2, s0, s6, v2
	v_add_co_ci_u32_e64 v3, s0, s7, v3, s0
	s_delay_alu instid0(VALU_DEP_4) | instskip(NEXT) | instid1(VALU_DEP_1)
	v_add_co_u32 v4, s0, v4, v20
	v_add_co_ci_u32_e64 v7, s0, 0, v5, s0
	v_cmp_ne_u32_e32 vcc_lo, 0, v1
	s_delay_alu instid0(VALU_DEP_3) | instskip(SKIP_1) | instid1(VALU_DEP_4)
	v_add_co_u32 v6, s0, s14, v4
	v_dual_mov_b32 v5, 0 :: v_dual_mov_b32 v8, v1
	v_add_co_ci_u32_e64 v7, s0, s15, v7, s0
	s_ashr_i32 s1, s17, 31
	s_mov_b32 s0, s17
	s_mov_b32 s9, 0
	s_lshl_b64 s[6:7], s[0:1], 2
	s_branch .LBB2_221
.LBB2_220:                              ;   in Loop: Header=BB2_221 Depth=1
	s_or_b32 exec_lo, exec_lo, s1
	v_add_nc_u32_e32 v8, s19, v8
	v_add_co_u32 v2, s0, v2, s2
	s_delay_alu instid0(VALU_DEP_1) | instskip(NEXT) | instid1(VALU_DEP_3)
	v_add_co_ci_u32_e64 v3, s0, s3, v3, s0
	v_cmp_le_i32_e64 s0, s18, v8
	v_add_co_u32 v6, s1, v6, s2
	s_delay_alu instid0(VALU_DEP_1) | instskip(NEXT) | instid1(VALU_DEP_3)
	v_add_co_ci_u32_e64 v7, s1, s3, v7, s1
	s_or_b32 s9, s0, s9
	s_delay_alu instid0(SALU_CYCLE_1)
	s_and_not1_b32 exec_lo, exec_lo, s9
	s_cbranch_execz .LBB2_239
.LBB2_221:                              ; =>This Loop Header: Depth=1
                                        ;     Child Loop BB2_224 Depth 2
                                        ;       Child Loop BB2_227 Depth 3
                                        ;         Child Loop BB2_229 Depth 4
                                        ;     Child Loop BB2_235 Depth 2
                                        ;       Child Loop BB2_237 Depth 3
	v_sub_nc_u32_e32 v9, s18, v8
	s_mov_b32 s10, exec_lo
	s_delay_alu instid0(VALU_DEP_1) | instskip(NEXT) | instid1(VALU_DEP_1)
	v_min_i32_e32 v23, s19, v9
	v_add_nc_u32_e32 v10, v23, v8
	v_cmpx_lt_i32_e32 0, v23
	s_cbranch_execz .LBB2_231
; %bb.222:                              ;   in Loop: Header=BB2_221 Depth=1
	v_dual_mov_b32 v12, v7 :: v_dual_mov_b32 v11, v6
	v_dual_mov_b32 v14, v3 :: v_dual_mov_b32 v13, v2
	v_mov_b32_e32 v15, v8
	s_mov_b32 s11, 0
	s_branch .LBB2_224
.LBB2_223:                              ;   in Loop: Header=BB2_224 Depth=2
	s_or_b32 exec_lo, exec_lo, s12
	v_add_nc_u32_e32 v15, 1, v15
	v_add_co_u32 v13, s0, v13, 4
	s_delay_alu instid0(VALU_DEP_1) | instskip(NEXT) | instid1(VALU_DEP_3)
	v_add_co_ci_u32_e64 v14, s0, 0, v14, s0
	v_cmp_ge_i32_e64 s0, v15, v10
	v_add_co_u32 v11, s1, v11, 4
	s_delay_alu instid0(VALU_DEP_1) | instskip(NEXT) | instid1(VALU_DEP_3)
	v_add_co_ci_u32_e64 v12, s1, 0, v12, s1
	s_or_b32 s11, s0, s11
	s_delay_alu instid0(SALU_CYCLE_1)
	s_and_not1_b32 exec_lo, exec_lo, s11
	s_cbranch_execz .LBB2_231
.LBB2_224:                              ;   Parent Loop BB2_221 Depth=1
                                        ; =>  This Loop Header: Depth=2
                                        ;       Child Loop BB2_227 Depth 3
                                        ;         Child Loop BB2_229 Depth 4
	s_delay_alu instid0(VALU_DEP_1) | instskip(SKIP_1) | instid1(VALU_DEP_1)
	v_sub_nc_u32_e32 v24, v10, v15
	s_mov_b32 s12, exec_lo
	v_cmpx_gt_i32_e64 v24, v0
	s_cbranch_execz .LBB2_223
; %bb.225:                              ;   in Loop: Header=BB2_224 Depth=2
	v_mul_lo_u32 v17, v15, s17
	v_ashrrev_i32_e32 v16, 31, v15
	s_mov_b32 s13, 0
	s_delay_alu instid0(VALU_DEP_1) | instskip(NEXT) | instid1(VALU_DEP_3)
	v_lshlrev_b64 v[19:20], 2, v[15:16]
	v_ashrrev_i32_e32 v18, 31, v17
	s_delay_alu instid0(VALU_DEP_2) | instskip(NEXT) | instid1(VALU_DEP_2)
	v_add_co_u32 v4, s0, s16, v19
	v_lshlrev_b64 v[25:26], 2, v[17:18]
	s_delay_alu instid0(VALU_DEP_4) | instskip(SKIP_1) | instid1(VALU_DEP_3)
	v_add_co_ci_u32_e64 v18, s0, s33, v20, s0
	v_dual_mov_b32 v17, v12 :: v_dual_mov_b32 v16, v11
	v_add_co_u32 v25, s0, v4, v25
	s_delay_alu instid0(VALU_DEP_1)
	v_add_co_ci_u32_e64 v26, s0, v18, v26, s0
	v_mov_b32_e32 v4, v0
	s_branch .LBB2_227
.LBB2_226:                              ;   in Loop: Header=BB2_227 Depth=3
	s_or_b32 exec_lo, exec_lo, s14
	v_lshlrev_b64 v[18:19], 2, v[4:5]
	v_add_nc_u32_e32 v4, 0x100, v4
	v_add_co_u32 v16, s1, 0x400, v16
	s_delay_alu instid0(VALU_DEP_1) | instskip(NEXT) | instid1(VALU_DEP_4)
	v_add_co_ci_u32_e64 v17, s1, 0, v17, s1
	v_add_co_u32 v18, s0, v25, v18
	s_delay_alu instid0(VALU_DEP_1)
	v_add_co_ci_u32_e64 v19, s0, v26, v19, s0
	v_cmp_ge_i32_e64 s0, v4, v24
	global_load_b32 v20, v[18:19], off
	s_or_b32 s13, s0, s13
	s_waitcnt vmcnt(0)
	v_sub_f32_e32 v20, v20, v27
	global_store_b32 v[18:19], v20, off
	s_and_not1_b32 exec_lo, exec_lo, s13
	s_cbranch_execz .LBB2_223
.LBB2_227:                              ;   Parent Loop BB2_221 Depth=1
                                        ;     Parent Loop BB2_224 Depth=2
                                        ; =>    This Loop Header: Depth=3
                                        ;         Child Loop BB2_229 Depth 4
	v_mov_b32_e32 v27, 0
	s_and_saveexec_b32 s14, vcc_lo
	s_cbranch_execz .LBB2_226
; %bb.228:                              ;   in Loop: Header=BB2_227 Depth=3
	v_mov_b32_e32 v19, v17
	v_dual_mov_b32 v27, 0 :: v_dual_mov_b32 v18, v16
	v_dual_mov_b32 v21, v14 :: v_dual_mov_b32 v20, v13
	v_mov_b32_e32 v28, v1
	s_mov_b32 s15, 0
	.p2align	6
.LBB2_229:                              ;   Parent Loop BB2_221 Depth=1
                                        ;     Parent Loop BB2_224 Depth=2
                                        ;       Parent Loop BB2_227 Depth=3
                                        ; =>      This Inner Loop Header: Depth=4
	global_load_b32 v29, v[18:19], off
	global_load_b32 v30, v[20:21], off
	v_add_nc_u32_e32 v28, -1, v28
	v_add_co_u32 v20, s0, v20, s4
	s_delay_alu instid0(VALU_DEP_1) | instskip(SKIP_1) | instid1(VALU_DEP_1)
	v_add_co_ci_u32_e64 v21, s0, s5, v21, s0
	v_add_co_u32 v18, s0, v18, s6
	v_add_co_ci_u32_e64 v19, s0, s7, v19, s0
	s_waitcnt vmcnt(0)
	v_fmac_f32_e32 v27, v29, v30
	v_cmp_eq_u32_e64 s1, 0, v28
	s_delay_alu instid0(VALU_DEP_1) | instskip(NEXT) | instid1(SALU_CYCLE_1)
	s_or_b32 s15, s1, s15
	s_and_not1_b32 exec_lo, exec_lo, s15
	s_cbranch_execnz .LBB2_229
; %bb.230:                              ;   in Loop: Header=BB2_227 Depth=3
	s_or_b32 exec_lo, exec_lo, s15
	s_branch .LBB2_226
.LBB2_231:                              ;   in Loop: Header=BB2_221 Depth=1
	s_or_b32 exec_lo, exec_lo, s10
	s_delay_alu instid0(SALU_CYCLE_1)
	s_mov_b32 s1, exec_lo
	v_cmpx_gt_i32_e64 s18, v10
	s_cbranch_execz .LBB2_220
; %bb.232:                              ;   in Loop: Header=BB2_221 Depth=1
	v_sub_nc_u32_e32 v13, v9, v23
	s_delay_alu instid0(VALU_DEP_1) | instskip(NEXT) | instid1(VALU_DEP_1)
	v_mul_lo_u32 v14, v13, v23
	v_cmp_gt_i32_e64 s0, v14, v0
	s_delay_alu instid0(VALU_DEP_1)
	s_and_b32 exec_lo, exec_lo, s0
	s_cbranch_execz .LBB2_220
; %bb.233:                              ;   in Loop: Header=BB2_221 Depth=1
	v_sub_nc_u32_e32 v4, 0, v13
	v_ashrrev_i32_e32 v11, 31, v10
	v_mul_lo_u32 v19, v8, s17
	v_ashrrev_i32_e32 v9, 31, v8
	v_ashrrev_i32_e32 v16, 31, v13
	v_max_i32_e32 v15, v13, v4
	v_lshlrev_b64 v[10:11], 2, v[10:11]
	s_mov_b32 s10, 0
	v_lshlrev_b64 v[23:24], 2, v[8:9]
	v_mov_b32_e32 v25, v0
	v_cvt_f32_u32_e32 v4, v15
	v_sub_nc_u32_e32 v12, 0, v15
	v_ashrrev_i32_e32 v20, 31, v19
	v_add_co_u32 v17, s0, s16, v10
	s_delay_alu instid0(VALU_DEP_4) | instskip(SKIP_1) | instid1(VALU_DEP_3)
	v_rcp_iflag_f32_e32 v4, v4
	v_add_co_ci_u32_e64 v18, s0, s33, v11, s0
	v_lshlrev_b64 v[9:10], 2, v[19:20]
	v_add_co_u32 v19, s0, s20, v23
	s_delay_alu instid0(VALU_DEP_1) | instskip(NEXT) | instid1(VALU_DEP_3)
	v_add_co_ci_u32_e64 v20, s0, s21, v24, s0
	v_add_co_u32 v21, s0, v17, v9
	s_waitcnt_depctr 0xfff
	v_mul_f32_e32 v4, 0x4f7ffffe, v4
	v_add_co_ci_u32_e64 v23, s0, v18, v10, s0
	s_delay_alu instid0(VALU_DEP_2) | instskip(NEXT) | instid1(VALU_DEP_1)
	v_cvt_u32_f32_e32 v4, v4
	v_mul_lo_u32 v12, v12, v4
	s_delay_alu instid0(VALU_DEP_1) | instskip(NEXT) | instid1(VALU_DEP_1)
	v_mul_hi_u32 v11, v4, v12
	v_add_nc_u32_e32 v24, v4, v11
	s_branch .LBB2_235
.LBB2_234:                              ;   in Loop: Header=BB2_235 Depth=2
	s_or_b32 exec_lo, exec_lo, s11
	s_delay_alu instid0(VALU_DEP_1) | instskip(NEXT) | instid1(VALU_DEP_1)
	v_mad_u64_u32 v[9:10], null, v27, s17, v[4:5]
	v_ashrrev_i32_e32 v10, 31, v9
	s_delay_alu instid0(VALU_DEP_1) | instskip(NEXT) | instid1(VALU_DEP_1)
	v_lshlrev_b64 v[9:10], 2, v[9:10]
	v_add_co_u32 v9, s0, v21, v9
	s_delay_alu instid0(VALU_DEP_1) | instskip(SKIP_3) | instid1(VALU_DEP_1)
	v_add_co_ci_u32_e64 v10, s0, v23, v10, s0
	global_load_b32 v4, v[9:10], off
	s_waitcnt vmcnt(0)
	v_dual_sub_f32 v4, v4, v26 :: v_dual_add_nc_u32 v25, 0x100, v25
	v_cmp_ge_i32_e64 s0, v25, v14
	global_store_b32 v[9:10], v4, off
	s_or_b32 s10, s0, s10
	s_delay_alu instid0(SALU_CYCLE_1)
	s_and_not1_b32 exec_lo, exec_lo, s10
	s_cbranch_execz .LBB2_220
.LBB2_235:                              ;   Parent Loop BB2_221 Depth=1
                                        ; =>  This Loop Header: Depth=2
                                        ;       Child Loop BB2_237 Depth 3
	s_delay_alu instid0(VALU_DEP_1) | instskip(SKIP_1) | instid1(VALU_DEP_2)
	v_mul_hi_u32 v4, v25, v24
	v_mov_b32_e32 v26, 0
	v_mul_lo_u32 v9, v4, v15
	v_add_nc_u32_e32 v10, 1, v4
	s_delay_alu instid0(VALU_DEP_2) | instskip(NEXT) | instid1(VALU_DEP_1)
	v_sub_nc_u32_e32 v9, v25, v9
	v_sub_nc_u32_e32 v11, v9, v15
	v_cmp_ge_u32_e64 s0, v9, v15
	s_delay_alu instid0(VALU_DEP_1) | instskip(NEXT) | instid1(VALU_DEP_3)
	v_cndmask_b32_e64 v4, v4, v10, s0
	v_cndmask_b32_e64 v9, v9, v11, s0
	s_delay_alu instid0(VALU_DEP_2) | instskip(NEXT) | instid1(VALU_DEP_2)
	v_add_nc_u32_e32 v10, 1, v4
	v_cmp_ge_u32_e64 s0, v9, v15
	s_delay_alu instid0(VALU_DEP_1) | instskip(NEXT) | instid1(VALU_DEP_1)
	v_cndmask_b32_e64 v4, v4, v10, s0
	v_xor_b32_e32 v4, v4, v16
	s_delay_alu instid0(VALU_DEP_1) | instskip(NEXT) | instid1(VALU_DEP_1)
	v_sub_nc_u32_e32 v27, v4, v16
	v_mul_lo_u32 v4, v27, v13
	s_delay_alu instid0(VALU_DEP_1)
	v_sub_nc_u32_e32 v4, v25, v4
	s_and_saveexec_b32 s11, vcc_lo
	s_cbranch_execz .LBB2_234
; %bb.236:                              ;   in Loop: Header=BB2_235 Depth=2
	s_delay_alu instid0(VALU_DEP_1)
	v_dual_mov_b32 v26, 0 :: v_dual_mov_b32 v9, v4
	v_dual_mov_b32 v11, v27 :: v_dual_mov_b32 v28, v1
	s_mov_b32 s12, 0
	.p2align	6
.LBB2_237:                              ;   Parent Loop BB2_221 Depth=1
                                        ;     Parent Loop BB2_235 Depth=2
                                        ; =>    This Inner Loop Header: Depth=3
	s_delay_alu instid0(VALU_DEP_2) | instskip(NEXT) | instid1(VALU_DEP_2)
	v_ashrrev_i32_e32 v10, 31, v9
	v_ashrrev_i32_e32 v12, 31, v11
	s_delay_alu instid0(VALU_DEP_3) | instskip(NEXT) | instid1(VALU_DEP_3)
	v_add_nc_u32_e32 v28, -1, v28
	v_lshlrev_b64 v[29:30], 2, v[9:10]
	s_delay_alu instid0(VALU_DEP_3) | instskip(SKIP_1) | instid1(VALU_DEP_3)
	v_lshlrev_b64 v[31:32], 2, v[11:12]
	v_add_nc_u32_e32 v9, s17, v9
	v_add_co_u32 v29, s0, v17, v29
	s_delay_alu instid0(VALU_DEP_1) | instskip(NEXT) | instid1(VALU_DEP_4)
	v_add_co_ci_u32_e64 v30, s0, v18, v30, s0
	v_add_co_u32 v31, s0, v19, v31
	s_delay_alu instid0(VALU_DEP_1)
	v_add_co_ci_u32_e64 v32, s0, v20, v32, s0
	v_cmp_eq_u32_e64 s0, 0, v28
	global_load_b32 v10, v[29:30], off
	global_load_b32 v12, v[31:32], off
	v_add_nc_u32_e32 v11, s18, v11
	s_or_b32 s12, s0, s12
	s_waitcnt vmcnt(0)
	v_fmac_f32_e32 v26, v10, v12
	s_and_not1_b32 exec_lo, exec_lo, s12
	s_cbranch_execnz .LBB2_237
; %bb.238:                              ;   in Loop: Header=BB2_235 Depth=2
	s_or_b32 exec_lo, exec_lo, s12
	s_branch .LBB2_234
.LBB2_239:
	s_or_b32 exec_lo, exec_lo, s8
	s_waitcnt lgkmcnt(0)
	s_waitcnt_vscnt null, 0x0
	s_barrier
	buffer_gl0_inv
	s_mov_b32 s0, exec_lo
	v_cmpx_lt_i32_e32 1, v1
	s_cbranch_execz .LBB2_247
; %bb.240:
	v_mov_b32_e32 v3, 0
	s_add_u32 s1, s16, -4
	s_addc_u32 s2, s33, -1
	s_lshl_b32 s3, s17, 8
	s_mov_b32 s4, 0
	s_branch .LBB2_243
.LBB2_241:                              ;   in Loop: Header=BB2_243 Depth=1
	s_waitcnt_vscnt null, 0x0
	s_barrier
	buffer_gl0_inv
.LBB2_242:                              ;   in Loop: Header=BB2_243 Depth=1
	s_or_b32 exec_lo, exec_lo, s0
	v_cmp_gt_i32_e32 vcc_lo, 2, v4
	v_mov_b32_e32 v1, v4
	s_or_b32 s4, vcc_lo, s4
	s_delay_alu instid0(SALU_CYCLE_1)
	s_and_not1_b32 exec_lo, exec_lo, s4
	s_cbranch_execz .LBB2_247
.LBB2_243:                              ; =>This Loop Header: Depth=1
                                        ;     Child Loop BB2_246 Depth 2
	s_delay_alu instid0(VALU_DEP_1) | instskip(SKIP_1) | instid1(VALU_DEP_2)
	v_add_nc_u32_e32 v2, -1, v1
	v_add_nc_u32_e32 v6, -2, v1
	v_lshlrev_b64 v[4:5], 2, v[2:3]
	s_delay_alu instid0(VALU_DEP_1) | instskip(NEXT) | instid1(VALU_DEP_2)
	v_add_co_u32 v4, vcc_lo, s40, v4
	v_add_co_ci_u32_e32 v5, vcc_lo, s41, v5, vcc_lo
	global_load_b32 v4, v[4:5], off
	s_waitcnt vmcnt(0)
	v_not_b32_e32 v5, v4
	v_cmp_gt_i32_e32 vcc_lo, 0, v4
	v_dual_cndmask_b32 v4, v2, v6 :: v_dual_add_nc_u32 v7, -1, v4
	s_delay_alu instid0(VALU_DEP_1) | instskip(NEXT) | instid1(VALU_DEP_2)
	v_cndmask_b32_e32 v5, v7, v5, vcc_lo
	v_cmp_ne_u32_e64 s0, 0, v4
	s_delay_alu instid0(VALU_DEP_2) | instskip(NEXT) | instid1(VALU_DEP_2)
	v_cmp_ne_u32_e32 vcc_lo, v5, v2
	s_and_b32 s5, vcc_lo, s0
	s_delay_alu instid0(SALU_CYCLE_1)
	s_and_saveexec_b32 s0, s5
	s_cbranch_execz .LBB2_242
; %bb.244:                              ;   in Loop: Header=BB2_243 Depth=1
	v_cmp_gt_i32_e32 vcc_lo, v4, v0
	s_and_b32 exec_lo, exec_lo, vcc_lo
	s_cbranch_execz .LBB2_241
; %bb.245:                              ;   in Loop: Header=BB2_243 Depth=1
	v_ashrrev_i32_e32 v2, 31, v1
	v_dual_mov_b32 v6, v22 :: v_dual_mov_b32 v7, v0
	s_mov_b32 s5, 0
	.p2align	6
.LBB2_246:                              ;   Parent Loop BB2_243 Depth=1
                                        ; =>  This Inner Loop Header: Depth=2
	s_delay_alu instid0(VALU_DEP_1) | instskip(SKIP_3) | instid1(VALU_DEP_4)
	v_ashrrev_i32_e32 v9, 31, v6
	v_add_nc_u32_e32 v8, v5, v6
	v_add_co_u32 v10, vcc_lo, v6, v1
	v_add_nc_u32_e32 v7, 0x100, v7
	v_add_co_ci_u32_e32 v11, vcc_lo, v9, v2, vcc_lo
	s_delay_alu instid0(VALU_DEP_4) | instskip(SKIP_1) | instid1(VALU_DEP_3)
	v_ashrrev_i32_e32 v9, 31, v8
	v_add_nc_u32_e32 v6, s3, v6
	v_lshlrev_b64 v[10:11], 2, v[10:11]
	s_delay_alu instid0(VALU_DEP_3) | instskip(NEXT) | instid1(VALU_DEP_2)
	v_lshlrev_b64 v[8:9], 2, v[8:9]
	v_add_co_u32 v10, vcc_lo, s1, v10
	s_delay_alu instid0(VALU_DEP_3) | instskip(NEXT) | instid1(VALU_DEP_3)
	v_add_co_ci_u32_e32 v11, vcc_lo, s2, v11, vcc_lo
	v_add_co_u32 v8, vcc_lo, s16, v8
	s_delay_alu instid0(VALU_DEP_4)
	v_add_co_ci_u32_e32 v9, vcc_lo, s33, v9, vcc_lo
	v_cmp_ge_i32_e32 vcc_lo, v7, v4
	s_clause 0x1
	global_load_b32 v12, v[10:11], off
	global_load_b32 v13, v[8:9], off
	s_waitcnt vmcnt(1)
	global_store_b32 v[8:9], v12, off
	s_waitcnt vmcnt(0)
	global_store_b32 v[10:11], v13, off
	s_or_b32 s5, vcc_lo, s5
	s_delay_alu instid0(SALU_CYCLE_1)
	s_and_not1_b32 exec_lo, exec_lo, s5
	s_cbranch_execnz .LBB2_246
	s_branch .LBB2_241
.LBB2_247:
	s_endpgm
.LBB2_248:
	v_mov_b32_e32 v1, 0
	s_and_saveexec_b32 s0, s2
	s_cbranch_execnz .LBB2_217
	s_branch .LBB2_218
	.section	.rodata,"a",@progbits
	.p2align	6, 0x0
	.amdhsa_kernel _ZN9rocsolver6v33100L18lasyf_kernel_lowerIfPfEEviiPiT0_iilS3_lS3_PT_
		.amdhsa_group_segment_fixed_size 2068
		.amdhsa_private_segment_fixed_size 0
		.amdhsa_kernarg_size 72
		.amdhsa_user_sgpr_count 14
		.amdhsa_user_sgpr_dispatch_ptr 0
		.amdhsa_user_sgpr_queue_ptr 0
		.amdhsa_user_sgpr_kernarg_segment_ptr 1
		.amdhsa_user_sgpr_dispatch_id 0
		.amdhsa_user_sgpr_private_segment_size 0
		.amdhsa_wavefront_size32 1
		.amdhsa_uses_dynamic_stack 0
		.amdhsa_enable_private_segment 0
		.amdhsa_system_sgpr_workgroup_id_x 1
		.amdhsa_system_sgpr_workgroup_id_y 1
		.amdhsa_system_sgpr_workgroup_id_z 0
		.amdhsa_system_sgpr_workgroup_info 0
		.amdhsa_system_vgpr_workitem_id 0
		.amdhsa_next_free_vgpr 42
		.amdhsa_next_free_sgpr 60
		.amdhsa_reserve_vcc 1
		.amdhsa_float_round_mode_32 0
		.amdhsa_float_round_mode_16_64 0
		.amdhsa_float_denorm_mode_32 3
		.amdhsa_float_denorm_mode_16_64 3
		.amdhsa_dx10_clamp 1
		.amdhsa_ieee_mode 1
		.amdhsa_fp16_overflow 0
		.amdhsa_workgroup_processor_mode 1
		.amdhsa_memory_ordered 1
		.amdhsa_forward_progress 0
		.amdhsa_shared_vgpr_count 0
		.amdhsa_exception_fp_ieee_invalid_op 0
		.amdhsa_exception_fp_denorm_src 0
		.amdhsa_exception_fp_ieee_div_zero 0
		.amdhsa_exception_fp_ieee_overflow 0
		.amdhsa_exception_fp_ieee_underflow 0
		.amdhsa_exception_fp_ieee_inexact 0
		.amdhsa_exception_int_div_zero 0
	.end_amdhsa_kernel
	.section	.text._ZN9rocsolver6v33100L18lasyf_kernel_lowerIfPfEEviiPiT0_iilS3_lS3_PT_,"axG",@progbits,_ZN9rocsolver6v33100L18lasyf_kernel_lowerIfPfEEviiPiT0_iilS3_lS3_PT_,comdat
.Lfunc_end2:
	.size	_ZN9rocsolver6v33100L18lasyf_kernel_lowerIfPfEEviiPiT0_iilS3_lS3_PT_, .Lfunc_end2-_ZN9rocsolver6v33100L18lasyf_kernel_lowerIfPfEEviiPiT0_iilS3_lS3_PT_
                                        ; -- End function
	.section	.AMDGPU.csdata,"",@progbits
; Kernel info:
; codeLenInByte = 11224
; NumSgprs: 62
; NumVgprs: 42
; ScratchSize: 0
; MemoryBound: 0
; FloatMode: 240
; IeeeMode: 1
; LDSByteSize: 2068 bytes/workgroup (compile time only)
; SGPRBlocks: 7
; VGPRBlocks: 5
; NumSGPRsForWavesPerEU: 62
; NumVGPRsForWavesPerEU: 42
; Occupancy: 16
; WaveLimiterHint : 1
; COMPUTE_PGM_RSRC2:SCRATCH_EN: 0
; COMPUTE_PGM_RSRC2:USER_SGPR: 14
; COMPUTE_PGM_RSRC2:TRAP_HANDLER: 0
; COMPUTE_PGM_RSRC2:TGID_X_EN: 1
; COMPUTE_PGM_RSRC2:TGID_Y_EN: 1
; COMPUTE_PGM_RSRC2:TGID_Z_EN: 0
; COMPUTE_PGM_RSRC2:TIDIG_COMP_CNT: 0
	.section	.text._ZN9rocsolver6v33100L18lasyf_kernel_upperIdPdEEviiPiT0_iilS3_lS3_PT_,"axG",@progbits,_ZN9rocsolver6v33100L18lasyf_kernel_upperIdPdEEviiPiT0_iilS3_lS3_PT_,comdat
	.globl	_ZN9rocsolver6v33100L18lasyf_kernel_upperIdPdEEviiPiT0_iilS3_lS3_PT_ ; -- Begin function _ZN9rocsolver6v33100L18lasyf_kernel_upperIdPdEEviiPiT0_iilS3_lS3_PT_
	.p2align	8
	.type	_ZN9rocsolver6v33100L18lasyf_kernel_upperIdPdEEviiPiT0_iilS3_lS3_PT_,@function
_ZN9rocsolver6v33100L18lasyf_kernel_upperIdPdEEviiPiT0_iilS3_lS3_PT_: ; @_ZN9rocsolver6v33100L18lasyf_kernel_upperIdPdEEviiPiT0_iilS3_lS3_PT_
; %bb.0:
	v_cmp_eq_u32_e64 s2, 0, v0
	s_mov_b32 s26, s15
	s_delay_alu instid0(VALU_DEP_1)
	s_and_saveexec_b32 s3, s2
	s_cbranch_execz .LBB3_2
; %bb.1:
	v_mov_b32_e32 v1, 0
	ds_store_b32 v1, v1 offset:3100
.LBB3_2:
	s_or_b32 exec_lo, exec_lo, s3
	s_clause 0x4
	s_load_b64 s[16:17], s[0:1], 0x18
	s_load_b256 s[4:11], s[0:1], 0x20
	s_load_b64 s[18:19], s[0:1], 0x0
	s_load_b128 s[12:15], s[0:1], 0x8
	s_load_b64 s[20:21], s[0:1], 0x40
	s_ashr_i32 s27, s26, 31
	v_lshlrev_b32_e32 v17, 3, v0
	v_add_nc_u32_e32 v16, 1, v0
	s_waitcnt lgkmcnt(0)
	s_ashr_i32 s1, s16, 31
	s_mul_i32 s3, s26, s5
	s_mul_hi_u32 s5, s26, s4
	s_mov_b32 s0, s16
	s_mul_i32 s16, s27, s4
	s_add_i32 s3, s5, s3
	s_mul_i32 s4, s26, s4
	s_add_i32 s5, s3, s16
	s_mul_i32 s3, s26, s18
	s_lshl_b64 s[22:23], s[4:5], 3
	s_mul_i32 s4, s26, s9
	s_add_u32 s5, s14, s22
	s_addc_u32 s9, s15, s23
	s_lshl_b64 s[24:25], s[0:1], 3
	s_mul_i32 s0, s3, s19
	s_add_u32 s16, s5, s24
	s_addc_u32 s33, s9, s25
	s_ashr_i32 s1, s0, 31
	s_mul_hi_u32 s3, s26, s8
	s_lshl_b64 s[28:29], s[0:1], 3
	s_mul_i32 s1, s27, s8
	s_add_u32 s45, s20, s28
	s_addc_u32 s46, s21, s29
	s_add_i32 s3, s3, s4
	s_mul_i32 s0, s26, s8
	s_add_i32 s1, s3, s1
	s_delay_alu instid0(SALU_CYCLE_1) | instskip(NEXT) | instid1(SALU_CYCLE_1)
	s_lshl_b64 s[0:1], s[0:1], 2
	s_add_u32 s42, s6, s0
	s_addc_u32 s43, s7, s1
	s_add_i32 s44, s18, -1
	s_mov_b32 s0, s19
	s_cmp_lt_i32 s44, 0
	s_mov_b32 s8, s44
	s_cbranch_scc1 .LBB3_219
; %bb.3:
	s_sub_i32 s47, s19, s18
	s_add_i32 s66, s19, -1
	s_sub_i32 s48, s18, s19
	s_cmp_eq_u32 s19, s18
	v_add_nc_u32_e32 v1, s19, v0
	s_cselect_b32 s6, -1, 0
	s_add_i32 s49, s17, 1
	s_lshl_b32 s50, s18, 1
	s_add_u32 s51, s16, 8
	s_addc_u32 s52, s33, 0
	s_add_u32 s53, s45, 8
	s_addc_u32 s54, s46, 0
	s_add_u32 s55, s45, -8
	s_addc_u32 s56, s46, -1
	s_add_u32 s57, s16, -8
	s_addc_u32 s58, s33, -1
	s_add_u32 s59, s20, s28
	s_addc_u32 s60, s21, s29
	s_add_u32 s3, s22, s24
	s_addc_u32 s4, s23, s25
	;; [unrolled: 2-line block ×3, first 2 shown]
	s_ashr_i32 s5, s18, 31
	s_mov_b32 s4, s18
	v_subrev_nc_u32_e32 v1, s18, v1
	s_lshl_b64 s[30:31], s[4:5], 3
	s_ashr_i32 s5, s17, 31
	s_mov_b32 s4, s17
	v_add_co_u32 v19, s7, s61, v17
	s_lshl_b64 s[34:35], s[4:5], 3
	v_add_co_u32 v21, s4, s59, v17
	s_delay_alu instid0(VALU_DEP_1) | instskip(SKIP_1) | instid1(VALU_DEP_3)
	v_add_co_ci_u32_e64 v22, null, s60, 0, s4
	v_lshl_or_b32 v18, v0, 2, 0x800
	v_add_co_u32 v23, vcc_lo, v21, 8
	v_cmp_gt_u32_e64 s0, 0x80, v0
	v_cmp_gt_u32_e64 s1, 64, v0
	;; [unrolled: 1-line block ×3, first 2 shown]
	v_mov_b32_e32 v5, 0
	v_add_co_ci_u32_e64 v20, null, s62, 0, s7
	v_add_co_ci_u32_e32 v24, vcc_lo, 0, v22, vcc_lo
	v_add_nc_u32_e32 v25, 1, v1
	s_mov_b32 s36, 0x66afed07
	s_lshl_b32 s63, s17, 8
	s_mov_b32 s37, 0x3fe47e0f
	s_lshl_b32 s64, s18, 8
	s_mov_b32 s9, 0
	s_xor_b32 s65, s6, -1
	s_mov_b32 s8, s44
	s_branch .LBB3_6
.LBB3_4:                                ;   in Loop: Header=BB3_6 Depth=1
	s_or_b32 exec_lo, exec_lo, s38
	s_add_i32 s8, s7, s8
	s_delay_alu instid0(SALU_CYCLE_1)
	s_add_i32 s66, s8, s47
	s_cmp_lt_i32 s8, 0
	s_cselect_b32 s4, -1, 0
.LBB3_5:                                ;   in Loop: Header=BB3_6 Depth=1
	s_delay_alu instid0(SALU_CYCLE_1)
	s_and_b32 vcc_lo, exec_lo, s4
	s_cbranch_vccnz .LBB3_218
.LBB3_6:                                ; =>This Loop Header: Depth=1
                                        ;     Child Loop BB3_9 Depth 2
                                        ;     Child Loop BB3_16 Depth 2
                                        ;       Child Loop BB3_18 Depth 3
                                        ;     Child Loop BB3_22 Depth 2
                                        ;     Child Loop BB3_67 Depth 2
                                        ;     Child Loop BB3_70 Depth 2
                                        ;     Child Loop BB3_77 Depth 2
                                        ;       Child Loop BB3_79 Depth 3
                                        ;     Child Loop BB3_84 Depth 2
                                        ;     Child Loop BB3_128 Depth 2
	;; [unrolled: 1-line block ×9, first 2 shown]
	s_cmp_le_i32 s8, s48
	s_cselect_b32 s4, -1, 0
	s_delay_alu instid0(SALU_CYCLE_1) | instskip(NEXT) | instid1(SALU_CYCLE_1)
	s_and_b32 s4, s65, s4
	s_and_b32 vcc_lo, exec_lo, s4
	s_mov_b32 s4, -1
	s_cbranch_vccnz .LBB3_5
; %bb.7:                                ;   in Loop: Header=BB3_6 Depth=1
	v_cmp_ge_i32_e64 s5, s8, v0
	s_delay_alu instid0(VALU_DEP_1)
	s_and_saveexec_b32 s6, s5
	s_cbranch_execz .LBB3_10
; %bb.8:                                ;   in Loop: Header=BB3_6 Depth=1
	v_mad_u64_u32 v[1:2], null, s66, s18, v[0:1]
	v_mov_b32_e32 v6, v0
	s_mov_b32 s7, 0
	s_delay_alu instid0(VALU_DEP_2) | instskip(SKIP_1) | instid1(VALU_DEP_1)
	v_mad_u64_u32 v[3:4], null, s8, s17, v[0:1]
	v_ashrrev_i32_e32 v2, 31, v1
	v_lshlrev_b64 v[1:2], 3, v[1:2]
	s_delay_alu instid0(VALU_DEP_3) | instskip(NEXT) | instid1(VALU_DEP_2)
	v_ashrrev_i32_e32 v4, 31, v3
	v_add_co_u32 v1, vcc_lo, s59, v1
	s_delay_alu instid0(VALU_DEP_2) | instskip(NEXT) | instid1(VALU_DEP_4)
	v_lshlrev_b64 v[3:4], 3, v[3:4]
	v_add_co_ci_u32_e32 v2, vcc_lo, s60, v2, vcc_lo
	s_delay_alu instid0(VALU_DEP_2) | instskip(NEXT) | instid1(VALU_DEP_3)
	v_add_co_u32 v3, vcc_lo, s61, v3
	v_add_co_ci_u32_e32 v4, vcc_lo, s62, v4, vcc_lo
	.p2align	6
.LBB3_9:                                ;   Parent Loop BB3_6 Depth=1
                                        ; =>  This Inner Loop Header: Depth=2
	global_load_b64 v[7:8], v[3:4], off
	v_add_nc_u32_e32 v6, 0x100, v6
	v_add_co_u32 v3, vcc_lo, 0x800, v3
	v_add_co_ci_u32_e32 v4, vcc_lo, 0, v4, vcc_lo
	s_delay_alu instid0(VALU_DEP_3) | instskip(SKIP_4) | instid1(VALU_DEP_1)
	v_cmp_lt_i32_e32 vcc_lo, s8, v6
	s_or_b32 s7, vcc_lo, s7
	s_waitcnt vmcnt(0)
	global_store_b64 v[1:2], v[7:8], off
	v_add_co_u32 v1, s4, 0x800, v1
	v_add_co_ci_u32_e64 v2, s4, 0, v2, s4
	s_and_not1_b32 exec_lo, exec_lo, s7
	s_cbranch_execnz .LBB3_9
.LBB3_10:                               ;   in Loop: Header=BB3_6 Depth=1
	s_or_b32 exec_lo, exec_lo, s6
	s_cmp_ge_i32 s8, s44
	s_mov_b32 s4, -1
	s_cselect_b32 s67, -1, 0
	s_cmp_lt_i32 s8, s44
	s_waitcnt_vscnt null, 0x0
	s_waitcnt lgkmcnt(0)
	s_barrier
	buffer_gl0_inv
                                        ; implicit-def: $sgpr38
	s_cbranch_scc1 .LBB3_12
; %bb.11:                               ;   in Loop: Header=BB3_6 Depth=1
	s_mul_i32 s38, s66, s18
	s_mov_b32 s4, 0
	s_ashr_i32 s39, s38, 31
.LBB3_12:                               ;   in Loop: Header=BB3_6 Depth=1
	s_and_not1_b32 vcc_lo, exec_lo, s4
	s_cbranch_vccnz .LBB3_20
; %bb.13:                               ;   in Loop: Header=BB3_6 Depth=1
	s_mul_i32 s38, s66, s18
	s_delay_alu instid0(SALU_CYCLE_1)
	s_ashr_i32 s39, s38, 31
	s_and_saveexec_b32 s68, s5
	s_cbranch_execz .LBB3_19
; %bb.14:                               ;   in Loop: Header=BB3_6 Depth=1
	s_add_i32 s4, s8, 1
	s_not_b32 s69, s8
	s_mul_i32 s40, s4, s17
	s_lshl_b64 s[6:7], s[8:9], 3
	s_add_i32 s69, s69, s18
	s_ashr_i32 s41, s40, 31
	s_add_u32 s4, s45, s6
	s_addc_u32 s70, s46, s7
	s_add_i32 s6, s66, 1
	v_mov_b32_e32 v4, v0
	s_mul_i32 s6, s6, s18
	s_mov_b32 s73, 0
	s_ashr_i32 s7, s6, 31
	s_delay_alu instid0(SALU_CYCLE_1) | instskip(NEXT) | instid1(SALU_CYCLE_1)
	s_lshl_b64 s[6:7], s[6:7], 3
	s_add_u32 s6, s4, s6
	s_addc_u32 s7, s70, s7
	s_lshl_b64 s[70:71], s[38:39], 3
	s_delay_alu instid0(SALU_CYCLE_1) | instskip(SKIP_4) | instid1(SALU_CYCLE_1)
	s_add_u32 s70, s45, s70
	s_addc_u32 s71, s46, s71
	s_cmp_gt_i32 s69, 0
	s_cselect_b32 s72, -1, 0
	s_lshl_b64 s[40:41], s[40:41], 3
	v_add_co_u32 v1, vcc_lo, v19, s40
	v_add_co_ci_u32_e32 v2, vcc_lo, s41, v20, vcc_lo
	s_set_inst_prefetch_distance 0x1
	s_branch .LBB3_16
	.p2align	6
.LBB3_15:                               ;   in Loop: Header=BB3_16 Depth=2
	v_lshlrev_b64 v[8:9], 3, v[4:5]
	v_add_nc_u32_e32 v4, 0x100, v4
	v_add_co_u32 v1, s4, 0x800, v1
	s_delay_alu instid0(VALU_DEP_1) | instskip(NEXT) | instid1(VALU_DEP_4)
	v_add_co_ci_u32_e64 v2, s4, 0, v2, s4
	v_add_co_u32 v8, vcc_lo, s70, v8
	v_add_co_ci_u32_e32 v9, vcc_lo, s71, v9, vcc_lo
	v_cmp_lt_i32_e32 vcc_lo, s8, v4
	global_load_b64 v[10:11], v[8:9], off
	s_or_b32 s73, vcc_lo, s73
	s_waitcnt vmcnt(0)
	v_add_f64 v[6:7], v[10:11], -v[6:7]
	global_store_b64 v[8:9], v[6:7], off
	s_and_not1_b32 exec_lo, exec_lo, s73
	s_cbranch_execz .LBB3_19
.LBB3_16:                               ;   Parent Loop BB3_6 Depth=1
                                        ; =>  This Loop Header: Depth=2
                                        ;       Child Loop BB3_18 Depth 3
	v_mov_b32_e32 v6, 0
	v_mov_b32_e32 v7, 0
	s_and_not1_b32 vcc_lo, exec_lo, s72
	s_cbranch_vccnz .LBB3_15
; %bb.17:                               ;   in Loop: Header=BB3_16 Depth=2
	v_dual_mov_b32 v9, v2 :: v_dual_mov_b32 v8, v1
	s_mov_b64 s[40:41], s[6:7]
	s_mov_b32 s4, s69
.LBB3_18:                               ;   Parent Loop BB3_6 Depth=1
                                        ;     Parent Loop BB3_16 Depth=2
                                        ; =>    This Inner Loop Header: Depth=3
	global_load_b64 v[10:11], v[8:9], off
	global_load_b64 v[12:13], v5, s[40:41]
	v_add_co_u32 v8, vcc_lo, v8, s34
	s_add_i32 s4, s4, -1
	v_add_co_ci_u32_e32 v9, vcc_lo, s35, v9, vcc_lo
	s_add_u32 s40, s40, s30
	s_addc_u32 s41, s41, s31
	s_cmp_eq_u32 s4, 0
	s_waitcnt vmcnt(0)
	v_fma_f64 v[6:7], v[10:11], v[12:13], v[6:7]
	s_cbranch_scc0 .LBB3_18
	s_branch .LBB3_15
.LBB3_19:                               ;   in Loop: Header=BB3_6 Depth=1
	s_set_inst_prefetch_distance 0x2
	s_or_b32 exec_lo, exec_lo, s68
	s_waitcnt_vscnt null, 0x0
	s_barrier
	buffer_gl0_inv
.LBB3_20:                               ;   in Loop: Header=BB3_6 Depth=1
	v_mov_b32_e32 v1, 0
	v_cmp_gt_i32_e64 s4, s8, v0
	v_mov_b32_e32 v2, 0
	v_bfrev_b32_e32 v6, -2
	s_delay_alu instid0(VALU_DEP_3)
	s_and_saveexec_b32 s7, s4
	s_cbranch_execz .LBB3_24
; %bb.21:                               ;   in Loop: Header=BB3_6 Depth=1
	s_lshl_b64 s[40:41], s[38:39], 3
	v_mov_b32_e32 v1, 0
	v_add_co_u32 v3, vcc_lo, v21, s40
	v_add_co_ci_u32_e32 v4, vcc_lo, s41, v22, vcc_lo
	v_bfrev_b32_e32 v6, -2
	v_dual_mov_b32 v2, 0 :: v_dual_mov_b32 v7, v0
	s_mov_b32 s39, 0
	.p2align	6
.LBB3_22:                               ;   Parent Loop BB3_6 Depth=1
                                        ; =>  This Inner Loop Header: Depth=2
	global_load_b64 v[8:9], v[3:4], off
	v_cmp_eq_u32_e32 vcc_lo, 0x7fffffff, v6
	v_add_co_u32 v3, s6, 0x800, v3
	s_delay_alu instid0(VALU_DEP_1) | instskip(SKIP_2) | instid1(VALU_DEP_1)
	v_add_co_ci_u32_e64 v4, s6, 0, v4, s6
	s_waitcnt vmcnt(0)
	v_cmp_lt_f64_e64 s40, v[1:2], |v[8:9]|
	s_or_b32 vcc_lo, s40, vcc_lo
	v_dual_cndmask_b32 v1, v1, v8 :: v_dual_add_nc_u32 v10, 1, v7
	s_delay_alu instid0(VALU_DEP_1) | instskip(NEXT) | instid1(VALU_DEP_1)
	v_dual_cndmask_b32 v6, v6, v10 :: v_dual_and_b32 v9, 0x7fffffff, v9
	v_dual_cndmask_b32 v2, v2, v9 :: v_dual_add_nc_u32 v7, 0x100, v7
	s_delay_alu instid0(VALU_DEP_1) | instskip(NEXT) | instid1(VALU_DEP_1)
	v_cmp_le_i32_e64 s6, s8, v7
	s_or_b32 s39, s6, s39
	s_delay_alu instid0(SALU_CYCLE_1)
	s_and_not1_b32 exec_lo, exec_lo, s39
	s_cbranch_execnz .LBB3_22
; %bb.23:                               ;   in Loop: Header=BB3_6 Depth=1
	s_or_b32 exec_lo, exec_lo, s39
.LBB3_24:                               ;   in Loop: Header=BB3_6 Depth=1
	s_delay_alu instid0(SALU_CYCLE_1)
	s_or_b32 exec_lo, exec_lo, s7
	s_cmp_lt_i32 s8, 2
	ds_store_b64 v17, v[1:2]
	ds_store_b32 v18, v6
	s_waitcnt lgkmcnt(0)
	s_barrier
	buffer_gl0_inv
	s_cbranch_scc1 .LBB3_61
; %bb.25:                               ;   in Loop: Header=BB3_6 Depth=1
	s_and_saveexec_b32 s7, s0
	s_cbranch_execz .LBB3_31
; %bb.26:                               ;   in Loop: Header=BB3_6 Depth=1
	ds_load_b64 v[3:4], v17 offset:1024
	ds_load_b32 v7, v18 offset:512
	s_mov_b32 s40, exec_lo
	s_waitcnt lgkmcnt(1)
	v_cmp_lt_f64_e64 s39, v[1:2], v[3:4]
	v_cmpx_nlt_f64_e32 v[1:2], v[3:4]
	s_cbranch_execz .LBB3_28
; %bb.27:                               ;   in Loop: Header=BB3_6 Depth=1
	v_cmp_eq_f64_e32 vcc_lo, v[1:2], v[3:4]
	s_waitcnt lgkmcnt(0)
	v_cmp_gt_i32_e64 s6, v6, v7
	s_delay_alu instid0(VALU_DEP_4) | instskip(NEXT) | instid1(VALU_DEP_1)
	s_and_not1_b32 s39, s39, exec_lo
	s_and_b32 s6, vcc_lo, s6
	s_delay_alu instid0(SALU_CYCLE_1) | instskip(NEXT) | instid1(SALU_CYCLE_1)
	s_and_b32 s6, s6, exec_lo
	s_or_b32 s39, s39, s6
.LBB3_28:                               ;   in Loop: Header=BB3_6 Depth=1
	s_or_b32 exec_lo, exec_lo, s40
	s_delay_alu instid0(VALU_DEP_2)
	s_and_saveexec_b32 s6, s39
	s_cbranch_execz .LBB3_30
; %bb.29:                               ;   in Loop: Header=BB3_6 Depth=1
	s_waitcnt lgkmcnt(0)
	v_mov_b32_e32 v6, v7
	v_dual_mov_b32 v1, v3 :: v_dual_mov_b32 v2, v4
	ds_store_b64 v17, v[3:4]
	ds_store_b32 v18, v7
.LBB3_30:                               ;   in Loop: Header=BB3_6 Depth=1
	s_or_b32 exec_lo, exec_lo, s6
.LBB3_31:                               ;   in Loop: Header=BB3_6 Depth=1
	s_delay_alu instid0(SALU_CYCLE_1)
	s_or_b32 exec_lo, exec_lo, s7
	s_waitcnt lgkmcnt(0)
	s_barrier
	buffer_gl0_inv
	s_and_saveexec_b32 s7, s1
	s_cbranch_execz .LBB3_37
; %bb.32:                               ;   in Loop: Header=BB3_6 Depth=1
	ds_load_b64 v[3:4], v17 offset:512
	ds_load_b32 v7, v18 offset:256
	s_mov_b32 s40, exec_lo
	s_waitcnt lgkmcnt(1)
	v_cmp_lt_f64_e64 s39, v[1:2], v[3:4]
	v_cmpx_nlt_f64_e32 v[1:2], v[3:4]
	s_cbranch_execz .LBB3_34
; %bb.33:                               ;   in Loop: Header=BB3_6 Depth=1
	v_cmp_eq_f64_e32 vcc_lo, v[1:2], v[3:4]
	s_waitcnt lgkmcnt(0)
	v_cmp_gt_i32_e64 s6, v6, v7
	s_delay_alu instid0(VALU_DEP_4) | instskip(NEXT) | instid1(VALU_DEP_1)
	s_and_not1_b32 s39, s39, exec_lo
	s_and_b32 s6, vcc_lo, s6
	s_delay_alu instid0(SALU_CYCLE_1) | instskip(NEXT) | instid1(SALU_CYCLE_1)
	s_and_b32 s6, s6, exec_lo
	s_or_b32 s39, s39, s6
.LBB3_34:                               ;   in Loop: Header=BB3_6 Depth=1
	s_or_b32 exec_lo, exec_lo, s40
	s_delay_alu instid0(VALU_DEP_2)
	s_and_saveexec_b32 s6, s39
	s_cbranch_execz .LBB3_36
; %bb.35:                               ;   in Loop: Header=BB3_6 Depth=1
	s_waitcnt lgkmcnt(0)
	v_mov_b32_e32 v6, v7
	v_dual_mov_b32 v1, v3 :: v_dual_mov_b32 v2, v4
	ds_store_b64 v17, v[3:4]
	ds_store_b32 v18, v7
.LBB3_36:                               ;   in Loop: Header=BB3_6 Depth=1
	s_or_b32 exec_lo, exec_lo, s6
.LBB3_37:                               ;   in Loop: Header=BB3_6 Depth=1
	s_delay_alu instid0(SALU_CYCLE_1)
	s_or_b32 exec_lo, exec_lo, s7
	s_waitcnt lgkmcnt(0)
	s_barrier
	buffer_gl0_inv
	s_and_saveexec_b32 s39, s3
	s_cbranch_execz .LBB3_60
; %bb.38:                               ;   in Loop: Header=BB3_6 Depth=1
	ds_load_b64 v[3:4], v17 offset:256
	ds_load_b32 v7, v18 offset:128
	s_mov_b32 s40, exec_lo
	s_waitcnt lgkmcnt(1)
	v_cmp_lt_f64_e64 s7, v[1:2], v[3:4]
	v_cmpx_nlt_f64_e32 v[1:2], v[3:4]
	s_cbranch_execz .LBB3_40
; %bb.39:                               ;   in Loop: Header=BB3_6 Depth=1
	v_cmp_eq_f64_e32 vcc_lo, v[1:2], v[3:4]
	s_waitcnt lgkmcnt(0)
	v_cmp_gt_i32_e64 s6, v6, v7
	s_delay_alu instid0(VALU_DEP_4) | instskip(NEXT) | instid1(VALU_DEP_1)
	s_and_not1_b32 s7, s7, exec_lo
	s_and_b32 s6, vcc_lo, s6
	s_delay_alu instid0(SALU_CYCLE_1) | instskip(NEXT) | instid1(SALU_CYCLE_1)
	s_and_b32 s6, s6, exec_lo
	s_or_b32 s7, s7, s6
.LBB3_40:                               ;   in Loop: Header=BB3_6 Depth=1
	s_or_b32 exec_lo, exec_lo, s40
	s_delay_alu instid0(VALU_DEP_2)
	s_and_saveexec_b32 s6, s7
	s_cbranch_execz .LBB3_42
; %bb.41:                               ;   in Loop: Header=BB3_6 Depth=1
	v_dual_mov_b32 v1, v3 :: v_dual_mov_b32 v2, v4
	s_waitcnt lgkmcnt(0)
	v_mov_b32_e32 v6, v7
	ds_store_b64 v17, v[3:4]
	ds_store_b32 v18, v7
.LBB3_42:                               ;   in Loop: Header=BB3_6 Depth=1
	s_or_b32 exec_lo, exec_lo, s6
	ds_load_b64 v[3:4], v17 offset:128
	s_waitcnt lgkmcnt(1)
	ds_load_b32 v7, v18 offset:64
	s_mov_b32 s40, exec_lo
	s_waitcnt lgkmcnt(1)
	v_cmp_lt_f64_e64 s7, v[1:2], v[3:4]
	v_cmpx_nlt_f64_e32 v[1:2], v[3:4]
	s_cbranch_execz .LBB3_44
; %bb.43:                               ;   in Loop: Header=BB3_6 Depth=1
	v_cmp_eq_f64_e32 vcc_lo, v[1:2], v[3:4]
	s_waitcnt lgkmcnt(0)
	v_cmp_gt_i32_e64 s6, v6, v7
	s_delay_alu instid0(VALU_DEP_4) | instskip(NEXT) | instid1(VALU_DEP_1)
	s_and_not1_b32 s7, s7, exec_lo
	s_and_b32 s6, vcc_lo, s6
	s_delay_alu instid0(SALU_CYCLE_1) | instskip(NEXT) | instid1(SALU_CYCLE_1)
	s_and_b32 s6, s6, exec_lo
	s_or_b32 s7, s7, s6
.LBB3_44:                               ;   in Loop: Header=BB3_6 Depth=1
	s_or_b32 exec_lo, exec_lo, s40
	s_delay_alu instid0(VALU_DEP_2)
	s_and_saveexec_b32 s6, s7
	s_cbranch_execz .LBB3_46
; %bb.45:                               ;   in Loop: Header=BB3_6 Depth=1
	v_dual_mov_b32 v1, v3 :: v_dual_mov_b32 v2, v4
	s_waitcnt lgkmcnt(0)
	v_mov_b32_e32 v6, v7
	ds_store_b64 v17, v[3:4]
	ds_store_b32 v18, v7
.LBB3_46:                               ;   in Loop: Header=BB3_6 Depth=1
	s_or_b32 exec_lo, exec_lo, s6
	ds_load_b64 v[3:4], v17 offset:64
	s_waitcnt lgkmcnt(1)
	;; [unrolled: 31-line block ×5, first 2 shown]
	ds_load_b32 v7, v18 offset:4
	s_waitcnt lgkmcnt(1)
	v_cmp_eq_f64_e32 vcc_lo, v[1:2], v[3:4]
	v_cmp_lt_f64_e64 s6, v[1:2], v[3:4]
	s_waitcnt lgkmcnt(0)
	v_cmp_gt_i32_e64 s7, v6, v7
	s_delay_alu instid0(VALU_DEP_1)
	s_and_b32 s7, vcc_lo, s7
	s_delay_alu instid0(VALU_DEP_2) | instid1(SALU_CYCLE_1)
	s_or_b32 s6, s6, s7
	s_delay_alu instid0(SALU_CYCLE_1)
	s_and_b32 exec_lo, exec_lo, s6
	s_cbranch_execz .LBB3_60
; %bb.59:                               ;   in Loop: Header=BB3_6 Depth=1
	ds_store_b64 v17, v[3:4]
	ds_store_b32 v18, v7
.LBB3_60:                               ;   in Loop: Header=BB3_6 Depth=1
	s_or_b32 exec_lo, exec_lo, s39
.LBB3_61:                               ;   in Loop: Header=BB3_6 Depth=1
	s_and_saveexec_b32 s6, s2
	s_cbranch_execz .LBB3_63
; %bb.62:                               ;   in Loop: Header=BB3_6 Depth=1
	s_add_i32 s40, s38, s8
	s_delay_alu instid0(SALU_CYCLE_1) | instskip(NEXT) | instid1(SALU_CYCLE_1)
	s_ashr_i32 s41, s40, 31
	s_lshl_b64 s[40:41], s[40:41], 3
	s_delay_alu instid0(SALU_CYCLE_1)
	s_add_u32 s40, s45, s40
	s_addc_u32 s41, s46, s41
	global_load_b64 v[1:2], v5, s[40:41]
	ds_load_b32 v6, v5 offset:2048
	ds_load_b64 v[3:4], v5
	s_waitcnt lgkmcnt(1)
	v_add_nc_u32_e32 v6, -1, v6
	s_waitcnt vmcnt(0)
	v_and_b32_e32 v2, 0x7fffffff, v2
	ds_store_b32 v5, v6 offset:3096
	s_waitcnt lgkmcnt(1)
	ds_store_b128 v5, v[1:4] offset:3072
.LBB3_63:                               ;   in Loop: Header=BB3_6 Depth=1
	s_or_b32 exec_lo, exec_lo, s6
	s_waitcnt lgkmcnt(0)
	s_barrier
	buffer_gl0_inv
	ds_load_b128 v[1:4], v5 offset:3072
	s_waitcnt lgkmcnt(0)
	v_cmp_lt_f64_e32 vcc_lo, v[1:2], v[3:4]
	v_dual_cndmask_b32 v7, v2, v4 :: v_dual_cndmask_b32 v6, v1, v3
	s_delay_alu instid0(VALU_DEP_1)
	v_cmp_neq_f64_e32 vcc_lo, 0, v[6:7]
	s_cbranch_vccz .LBB3_80
; %bb.64:                               ;   in Loop: Header=BB3_6 Depth=1
	v_mul_f64 v[3:4], v[3:4], s[36:37]
	s_delay_alu instid0(VALU_DEP_1)
	v_cmp_ge_f64_e32 vcc_lo, v[1:2], v[3:4]
	s_cbranch_vccnz .LBB3_176
; %bb.65:                               ;   in Loop: Header=BB3_6 Depth=1
	ds_load_b32 v1, v5 offset:3096
	s_mov_b32 s7, exec_lo
	s_waitcnt lgkmcnt(0)
	v_cmpx_ge_i32_e64 v1, v0
	s_cbranch_execz .LBB3_68
; %bb.66:                               ;   in Loop: Header=BB3_6 Depth=1
	v_mad_u64_u32 v[2:3], null, v1, s17, v[0:1]
	s_add_i32 s6, s66, -1
	v_mov_b32_e32 v4, v0
	v_mad_u64_u32 v[6:7], null, s6, s18, v[0:1]
	s_mov_b32 s39, 0
	s_delay_alu instid0(VALU_DEP_3) | instskip(NEXT) | instid1(VALU_DEP_2)
	v_ashrrev_i32_e32 v3, 31, v2
	v_ashrrev_i32_e32 v7, 31, v6
	s_delay_alu instid0(VALU_DEP_2) | instskip(NEXT) | instid1(VALU_DEP_2)
	v_lshlrev_b64 v[2:3], 3, v[2:3]
	v_lshlrev_b64 v[6:7], 3, v[6:7]
	s_delay_alu instid0(VALU_DEP_2) | instskip(NEXT) | instid1(VALU_DEP_3)
	v_add_co_u32 v2, vcc_lo, s61, v2
	v_add_co_ci_u32_e32 v3, vcc_lo, s62, v3, vcc_lo
	s_delay_alu instid0(VALU_DEP_3) | instskip(NEXT) | instid1(VALU_DEP_4)
	v_add_co_u32 v6, vcc_lo, s59, v6
	v_add_co_ci_u32_e32 v7, vcc_lo, s60, v7, vcc_lo
	.p2align	6
.LBB3_67:                               ;   Parent Loop BB3_6 Depth=1
                                        ; =>  This Inner Loop Header: Depth=2
	global_load_b64 v[8:9], v[2:3], off
	v_add_nc_u32_e32 v4, 0x100, v4
	v_add_co_u32 v2, vcc_lo, 0x800, v2
	v_add_co_ci_u32_e32 v3, vcc_lo, 0, v3, vcc_lo
	s_delay_alu instid0(VALU_DEP_3) | instskip(SKIP_4) | instid1(VALU_DEP_1)
	v_cmp_gt_i32_e32 vcc_lo, v4, v1
	s_or_b32 s39, vcc_lo, s39
	s_waitcnt vmcnt(0)
	global_store_b64 v[6:7], v[8:9], off
	v_add_co_u32 v6, s6, 0x800, v6
	v_add_co_ci_u32_e64 v7, s6, 0, v7, s6
	s_and_not1_b32 exec_lo, exec_lo, s39
	s_cbranch_execnz .LBB3_67
.LBB3_68:                               ;   in Loop: Header=BB3_6 Depth=1
	s_or_b32 exec_lo, exec_lo, s7
	v_sub_nc_u32_e32 v4, s8, v1
	s_mov_b32 s7, exec_lo
	s_delay_alu instid0(VALU_DEP_1)
	v_cmpx_gt_i32_e64 v4, v0
	s_cbranch_execz .LBB3_71
; %bb.69:                               ;   in Loop: Header=BB3_6 Depth=1
	s_add_i32 s6, s66, -1
	v_add_nc_u32_e32 v6, v16, v1
	s_mul_i32 s6, s6, s18
	s_mov_b32 s39, 0
	v_add_nc_u32_e32 v7, s6, v1
	s_delay_alu instid0(VALU_DEP_2) | instskip(NEXT) | instid1(VALU_DEP_2)
	v_mad_u64_u32 v[2:3], null, s17, v6, v[1:2]
	v_dual_mov_b32 v6, v0 :: v_dual_add_nc_u32 v1, 1, v7
	.p2align	6
.LBB3_70:                               ;   Parent Loop BB3_6 Depth=1
                                        ; =>  This Inner Loop Header: Depth=2
	s_delay_alu instid0(VALU_DEP_2) | instskip(NEXT) | instid1(VALU_DEP_2)
	v_ashrrev_i32_e32 v3, 31, v2
	v_add_nc_u32_e32 v9, v1, v6
	v_add_nc_u32_e32 v6, 0x100, v6
	s_delay_alu instid0(VALU_DEP_3) | instskip(NEXT) | instid1(VALU_DEP_3)
	v_lshlrev_b64 v[7:8], 3, v[2:3]
	v_ashrrev_i32_e32 v10, 31, v9
	v_add_nc_u32_e32 v2, s63, v2
	s_delay_alu instid0(VALU_DEP_2) | instskip(NEXT) | instid1(VALU_DEP_4)
	v_lshlrev_b64 v[9:10], 3, v[9:10]
	v_add_co_u32 v7, vcc_lo, s16, v7
	v_add_co_ci_u32_e32 v8, vcc_lo, s33, v8, vcc_lo
	v_cmp_ge_i32_e32 vcc_lo, v6, v4
	s_delay_alu instid0(VALU_DEP_4)
	v_add_co_u32 v9, s6, s45, v9
	global_load_b64 v[7:8], v[7:8], off
	v_add_co_ci_u32_e64 v10, s6, s46, v10, s6
	s_or_b32 s39, vcc_lo, s39
	s_waitcnt vmcnt(0)
	global_store_b64 v[9:10], v[7:8], off
	s_and_not1_b32 exec_lo, exec_lo, s39
	s_cbranch_execnz .LBB3_70
.LBB3_71:                               ;   in Loop: Header=BB3_6 Depth=1
	s_or_b32 exec_lo, exec_lo, s7
	s_delay_alu instid0(SALU_CYCLE_1)
	s_and_not1_b32 vcc_lo, exec_lo, s67
	s_mov_b32 s6, -1
	s_waitcnt_vscnt null, 0x0
	s_barrier
	buffer_gl0_inv
                                        ; implicit-def: $sgpr40
	s_cbranch_vccnz .LBB3_73
; %bb.72:                               ;   in Loop: Header=BB3_6 Depth=1
	s_add_i32 s6, s66, -1
	s_delay_alu instid0(SALU_CYCLE_1)
	s_mul_i32 s40, s6, s18
	s_mov_b32 s6, 0
	s_ashr_i32 s41, s40, 31
.LBB3_73:                               ;   in Loop: Header=BB3_6 Depth=1
	s_and_not1_b32 vcc_lo, exec_lo, s6
	s_cbranch_vccnz .LBB3_82
; %bb.74:                               ;   in Loop: Header=BB3_6 Depth=1
	s_add_i32 s6, s66, 1
	s_delay_alu instid0(SALU_CYCLE_1) | instskip(NEXT) | instid1(SALU_CYCLE_1)
	s_mul_i32 s6, s6, s18
	s_sub_i32 s40, s6, s50
	s_delay_alu instid0(SALU_CYCLE_1)
	s_ashr_i32 s41, s40, 31
	s_and_saveexec_b32 s39, s5
	s_cbranch_execz .LBB3_81
; %bb.75:                               ;   in Loop: Header=BB3_6 Depth=1
	ds_load_b32 v1, v5 offset:3096
	s_add_i32 s70, s8, 1
	s_not_b32 s67, s8
	s_ashr_i32 s7, s6, 31
	s_mul_i32 s70, s70, s17
	s_lshl_b64 s[68:69], s[40:41], 3
	s_add_i32 s67, s67, s18
	s_lshl_b64 s[72:73], s[6:7], 3
	s_ashr_i32 s71, s70, 31
	s_add_u32 s7, s45, s68
	s_addc_u32 s68, s46, s69
	s_cmp_gt_i32 s67, 0
	s_cselect_b32 s69, -1, 0
	s_lshl_b64 s[70:71], s[70:71], 3
	s_waitcnt lgkmcnt(0)
	v_ashrrev_i32_e32 v2, 31, v1
	s_delay_alu instid0(VALU_DEP_1) | instskip(NEXT) | instid1(VALU_DEP_1)
	v_lshlrev_b64 v[1:2], 3, v[1:2]
	v_add_co_u32 v3, vcc_lo, s45, v1
	s_delay_alu instid0(VALU_DEP_2) | instskip(SKIP_2) | instid1(VALU_DEP_4)
	v_add_co_ci_u32_e32 v4, vcc_lo, s46, v2, vcc_lo
	v_add_co_u32 v1, vcc_lo, v19, s70
	v_add_co_ci_u32_e32 v2, vcc_lo, s71, v20, vcc_lo
	v_add_co_u32 v6, vcc_lo, v3, s72
	s_delay_alu instid0(VALU_DEP_4)
	v_add_co_ci_u32_e32 v7, vcc_lo, s73, v4, vcc_lo
	v_mov_b32_e32 v4, v0
	s_mov_b32 s70, 0
	s_set_inst_prefetch_distance 0x1
	s_branch .LBB3_77
	.p2align	6
.LBB3_76:                               ;   in Loop: Header=BB3_77 Depth=2
	v_lshlrev_b64 v[10:11], 3, v[4:5]
	v_add_nc_u32_e32 v4, 0x100, v4
	v_add_co_u32 v1, s6, 0x800, v1
	s_delay_alu instid0(VALU_DEP_1) | instskip(NEXT) | instid1(VALU_DEP_4)
	v_add_co_ci_u32_e64 v2, s6, 0, v2, s6
	v_add_co_u32 v10, vcc_lo, s7, v10
	v_add_co_ci_u32_e32 v11, vcc_lo, s68, v11, vcc_lo
	v_cmp_lt_i32_e32 vcc_lo, s8, v4
	global_load_b64 v[12:13], v[10:11], off
	s_or_b32 s70, vcc_lo, s70
	s_waitcnt vmcnt(0)
	v_add_f64 v[8:9], v[12:13], -v[8:9]
	global_store_b64 v[10:11], v[8:9], off
	s_and_not1_b32 exec_lo, exec_lo, s70
	s_cbranch_execz .LBB3_81
.LBB3_77:                               ;   Parent Loop BB3_6 Depth=1
                                        ; =>  This Loop Header: Depth=2
                                        ;       Child Loop BB3_79 Depth 3
	v_mov_b32_e32 v8, 0
	v_mov_b32_e32 v9, 0
	s_and_not1_b32 vcc_lo, exec_lo, s69
	s_cbranch_vccnz .LBB3_76
; %bb.78:                               ;   in Loop: Header=BB3_77 Depth=2
	v_dual_mov_b32 v11, v2 :: v_dual_mov_b32 v10, v1
	v_dual_mov_b32 v13, v7 :: v_dual_mov_b32 v12, v6
	s_mov_b32 s6, s67
.LBB3_79:                               ;   Parent Loop BB3_6 Depth=1
                                        ;     Parent Loop BB3_77 Depth=2
                                        ; =>    This Inner Loop Header: Depth=3
	global_load_b64 v[14:15], v[10:11], off
	global_load_b64 v[26:27], v[12:13], off
	v_add_co_u32 v12, vcc_lo, v12, s30
	v_add_co_ci_u32_e32 v13, vcc_lo, s31, v13, vcc_lo
	v_add_co_u32 v10, vcc_lo, v10, s34
	v_add_co_ci_u32_e32 v11, vcc_lo, s35, v11, vcc_lo
	s_add_i32 s6, s6, -1
	s_delay_alu instid0(SALU_CYCLE_1)
	s_cmp_eq_u32 s6, 0
	s_waitcnt vmcnt(0)
	v_fma_f64 v[8:9], v[14:15], v[26:27], v[8:9]
	s_cbranch_scc0 .LBB3_79
	s_branch .LBB3_76
.LBB3_80:                               ;   in Loop: Header=BB3_6 Depth=1
                                        ; implicit-def: $sgpr6
                                        ; implicit-def: $sgpr7
                                        ; implicit-def: $sgpr5
	s_cbranch_execz .LBB3_195
	s_branch .LBB3_210
.LBB3_81:                               ;   in Loop: Header=BB3_6 Depth=1
	s_set_inst_prefetch_distance 0x2
	s_or_b32 exec_lo, exec_lo, s39
	s_waitcnt_vscnt null, 0x0
	s_barrier
	buffer_gl0_inv
.LBB3_82:                               ;   in Loop: Header=BB3_6 Depth=1
	ds_load_b32 v3, v5 offset:3096
	v_mov_b32_e32 v1, 0
	v_mov_b32_e32 v2, 0
	v_bfrev_b32_e32 v6, -2
	s_mov_b32 s7, exec_lo
	s_waitcnt lgkmcnt(0)
	v_sub_nc_u32_e32 v7, s8, v3
	s_delay_alu instid0(VALU_DEP_1)
	v_cmpx_gt_i32_e64 v7, v0
	s_cbranch_execz .LBB3_86
; %bb.83:                               ;   in Loop: Header=BB3_6 Depth=1
	v_ashrrev_i32_e32 v4, 31, v3
	s_lshl_b64 s[68:69], s[40:41], 3
	v_bfrev_b32_e32 v6, -2
	s_mov_b32 s39, 0
	v_mov_b32_e32 v8, v0
	v_lshlrev_b64 v[1:2], 3, v[3:4]
	s_delay_alu instid0(VALU_DEP_1) | instskip(NEXT) | instid1(VALU_DEP_2)
	v_add_co_u32 v3, vcc_lo, s68, v1
	v_add_co_ci_u32_e32 v4, vcc_lo, s69, v2, vcc_lo
	v_mov_b32_e32 v1, 0
	s_delay_alu instid0(VALU_DEP_3) | instskip(SKIP_1) | instid1(VALU_DEP_4)
	v_add_co_u32 v3, vcc_lo, v23, v3
	v_mov_b32_e32 v2, 0
	v_add_co_ci_u32_e32 v4, vcc_lo, v24, v4, vcc_lo
	.p2align	6
.LBB3_84:                               ;   Parent Loop BB3_6 Depth=1
                                        ; =>  This Inner Loop Header: Depth=2
	global_load_b64 v[9:10], v[3:4], off
	v_cmp_eq_u32_e32 vcc_lo, 0x7fffffff, v6
	v_add_co_u32 v3, s6, 0x800, v3
	s_delay_alu instid0(VALU_DEP_1) | instskip(SKIP_3) | instid1(VALU_DEP_2)
	v_add_co_ci_u32_e64 v4, s6, 0, v4, s6
	s_waitcnt vmcnt(0)
	v_cmp_lt_f64_e64 s67, v[1:2], |v[9:10]|
	v_and_b32_e32 v10, 0x7fffffff, v10
	s_or_b32 vcc_lo, s67, vcc_lo
	s_delay_alu instid0(VALU_DEP_1) | instskip(SKIP_1) | instid1(VALU_DEP_2)
	v_dual_cndmask_b32 v2, v2, v10 :: v_dual_add_nc_u32 v11, 1, v8
	v_dual_cndmask_b32 v1, v1, v9 :: v_dual_add_nc_u32 v8, 0x100, v8
	v_cndmask_b32_e32 v6, v6, v11, vcc_lo
	s_delay_alu instid0(VALU_DEP_2) | instskip(NEXT) | instid1(VALU_DEP_1)
	v_cmp_ge_i32_e64 s6, v8, v7
	s_or_b32 s39, s6, s39
	s_delay_alu instid0(SALU_CYCLE_1)
	s_and_not1_b32 exec_lo, exec_lo, s39
	s_cbranch_execnz .LBB3_84
; %bb.85:                               ;   in Loop: Header=BB3_6 Depth=1
	s_or_b32 exec_lo, exec_lo, s39
.LBB3_86:                               ;   in Loop: Header=BB3_6 Depth=1
	s_delay_alu instid0(SALU_CYCLE_1)
	s_or_b32 exec_lo, exec_lo, s7
	v_cmp_gt_i32_e32 vcc_lo, 2, v7
	ds_store_b64 v17, v[1:2]
	ds_store_b32 v18, v6
	s_waitcnt lgkmcnt(0)
	s_barrier
	buffer_gl0_inv
	s_cbranch_vccnz .LBB3_123
; %bb.87:                               ;   in Loop: Header=BB3_6 Depth=1
	s_and_saveexec_b32 s7, s0
	s_cbranch_execz .LBB3_93
; %bb.88:                               ;   in Loop: Header=BB3_6 Depth=1
	ds_load_b64 v[3:4], v17 offset:1024
	ds_load_b32 v7, v18 offset:512
	s_mov_b32 s67, exec_lo
	s_waitcnt lgkmcnt(1)
	v_cmp_lt_f64_e64 s39, v[1:2], v[3:4]
	v_cmpx_nlt_f64_e32 v[1:2], v[3:4]
	s_cbranch_execz .LBB3_90
; %bb.89:                               ;   in Loop: Header=BB3_6 Depth=1
	v_cmp_eq_f64_e32 vcc_lo, v[1:2], v[3:4]
	s_waitcnt lgkmcnt(0)
	v_cmp_gt_i32_e64 s6, v6, v7
	s_delay_alu instid0(VALU_DEP_4) | instskip(NEXT) | instid1(VALU_DEP_1)
	s_and_not1_b32 s39, s39, exec_lo
	s_and_b32 s6, vcc_lo, s6
	s_delay_alu instid0(SALU_CYCLE_1) | instskip(NEXT) | instid1(SALU_CYCLE_1)
	s_and_b32 s6, s6, exec_lo
	s_or_b32 s39, s39, s6
.LBB3_90:                               ;   in Loop: Header=BB3_6 Depth=1
	s_or_b32 exec_lo, exec_lo, s67
	s_delay_alu instid0(VALU_DEP_2)
	s_and_saveexec_b32 s6, s39
	s_cbranch_execz .LBB3_92
; %bb.91:                               ;   in Loop: Header=BB3_6 Depth=1
	s_waitcnt lgkmcnt(0)
	v_mov_b32_e32 v6, v7
	v_dual_mov_b32 v1, v3 :: v_dual_mov_b32 v2, v4
	ds_store_b64 v17, v[3:4]
	ds_store_b32 v18, v7
.LBB3_92:                               ;   in Loop: Header=BB3_6 Depth=1
	s_or_b32 exec_lo, exec_lo, s6
.LBB3_93:                               ;   in Loop: Header=BB3_6 Depth=1
	s_delay_alu instid0(SALU_CYCLE_1)
	s_or_b32 exec_lo, exec_lo, s7
	s_waitcnt lgkmcnt(0)
	s_barrier
	buffer_gl0_inv
	s_and_saveexec_b32 s7, s1
	s_cbranch_execz .LBB3_99
; %bb.94:                               ;   in Loop: Header=BB3_6 Depth=1
	ds_load_b64 v[3:4], v17 offset:512
	ds_load_b32 v7, v18 offset:256
	s_mov_b32 s67, exec_lo
	s_waitcnt lgkmcnt(1)
	v_cmp_lt_f64_e64 s39, v[1:2], v[3:4]
	v_cmpx_nlt_f64_e32 v[1:2], v[3:4]
	s_cbranch_execz .LBB3_96
; %bb.95:                               ;   in Loop: Header=BB3_6 Depth=1
	v_cmp_eq_f64_e32 vcc_lo, v[1:2], v[3:4]
	s_waitcnt lgkmcnt(0)
	v_cmp_gt_i32_e64 s6, v6, v7
	s_delay_alu instid0(VALU_DEP_4) | instskip(NEXT) | instid1(VALU_DEP_1)
	s_and_not1_b32 s39, s39, exec_lo
	s_and_b32 s6, vcc_lo, s6
	s_delay_alu instid0(SALU_CYCLE_1) | instskip(NEXT) | instid1(SALU_CYCLE_1)
	s_and_b32 s6, s6, exec_lo
	s_or_b32 s39, s39, s6
.LBB3_96:                               ;   in Loop: Header=BB3_6 Depth=1
	s_or_b32 exec_lo, exec_lo, s67
	s_delay_alu instid0(VALU_DEP_2)
	s_and_saveexec_b32 s6, s39
	s_cbranch_execz .LBB3_98
; %bb.97:                               ;   in Loop: Header=BB3_6 Depth=1
	s_waitcnt lgkmcnt(0)
	v_mov_b32_e32 v6, v7
	v_dual_mov_b32 v1, v3 :: v_dual_mov_b32 v2, v4
	ds_store_b64 v17, v[3:4]
	ds_store_b32 v18, v7
.LBB3_98:                               ;   in Loop: Header=BB3_6 Depth=1
	s_or_b32 exec_lo, exec_lo, s6
.LBB3_99:                               ;   in Loop: Header=BB3_6 Depth=1
	s_delay_alu instid0(SALU_CYCLE_1)
	s_or_b32 exec_lo, exec_lo, s7
	s_waitcnt lgkmcnt(0)
	s_barrier
	buffer_gl0_inv
	s_and_saveexec_b32 s39, s3
	s_cbranch_execz .LBB3_122
; %bb.100:                              ;   in Loop: Header=BB3_6 Depth=1
	ds_load_b64 v[3:4], v17 offset:256
	ds_load_b32 v7, v18 offset:128
	s_mov_b32 s67, exec_lo
	s_waitcnt lgkmcnt(1)
	v_cmp_lt_f64_e64 s7, v[1:2], v[3:4]
	v_cmpx_nlt_f64_e32 v[1:2], v[3:4]
	s_cbranch_execz .LBB3_102
; %bb.101:                              ;   in Loop: Header=BB3_6 Depth=1
	v_cmp_eq_f64_e32 vcc_lo, v[1:2], v[3:4]
	s_waitcnt lgkmcnt(0)
	v_cmp_gt_i32_e64 s6, v6, v7
	s_delay_alu instid0(VALU_DEP_4) | instskip(NEXT) | instid1(VALU_DEP_1)
	s_and_not1_b32 s7, s7, exec_lo
	s_and_b32 s6, vcc_lo, s6
	s_delay_alu instid0(SALU_CYCLE_1) | instskip(NEXT) | instid1(SALU_CYCLE_1)
	s_and_b32 s6, s6, exec_lo
	s_or_b32 s7, s7, s6
.LBB3_102:                              ;   in Loop: Header=BB3_6 Depth=1
	s_or_b32 exec_lo, exec_lo, s67
	s_delay_alu instid0(VALU_DEP_2)
	s_and_saveexec_b32 s6, s7
	s_cbranch_execz .LBB3_104
; %bb.103:                              ;   in Loop: Header=BB3_6 Depth=1
	v_dual_mov_b32 v1, v3 :: v_dual_mov_b32 v2, v4
	s_waitcnt lgkmcnt(0)
	v_mov_b32_e32 v6, v7
	ds_store_b64 v17, v[3:4]
	ds_store_b32 v18, v7
.LBB3_104:                              ;   in Loop: Header=BB3_6 Depth=1
	s_or_b32 exec_lo, exec_lo, s6
	ds_load_b64 v[3:4], v17 offset:128
	s_waitcnt lgkmcnt(1)
	ds_load_b32 v7, v18 offset:64
	s_mov_b32 s67, exec_lo
	s_waitcnt lgkmcnt(1)
	v_cmp_lt_f64_e64 s7, v[1:2], v[3:4]
	v_cmpx_nlt_f64_e32 v[1:2], v[3:4]
	s_cbranch_execz .LBB3_106
; %bb.105:                              ;   in Loop: Header=BB3_6 Depth=1
	v_cmp_eq_f64_e32 vcc_lo, v[1:2], v[3:4]
	s_waitcnt lgkmcnt(0)
	v_cmp_gt_i32_e64 s6, v6, v7
	s_delay_alu instid0(VALU_DEP_4) | instskip(NEXT) | instid1(VALU_DEP_1)
	s_and_not1_b32 s7, s7, exec_lo
	s_and_b32 s6, vcc_lo, s6
	s_delay_alu instid0(SALU_CYCLE_1) | instskip(NEXT) | instid1(SALU_CYCLE_1)
	s_and_b32 s6, s6, exec_lo
	s_or_b32 s7, s7, s6
.LBB3_106:                              ;   in Loop: Header=BB3_6 Depth=1
	s_or_b32 exec_lo, exec_lo, s67
	s_delay_alu instid0(VALU_DEP_2)
	s_and_saveexec_b32 s6, s7
	s_cbranch_execz .LBB3_108
; %bb.107:                              ;   in Loop: Header=BB3_6 Depth=1
	v_dual_mov_b32 v1, v3 :: v_dual_mov_b32 v2, v4
	s_waitcnt lgkmcnt(0)
	v_mov_b32_e32 v6, v7
	ds_store_b64 v17, v[3:4]
	ds_store_b32 v18, v7
.LBB3_108:                              ;   in Loop: Header=BB3_6 Depth=1
	s_or_b32 exec_lo, exec_lo, s6
	ds_load_b64 v[3:4], v17 offset:64
	s_waitcnt lgkmcnt(1)
	;; [unrolled: 31-line block ×5, first 2 shown]
	ds_load_b32 v7, v18 offset:4
	s_waitcnt lgkmcnt(1)
	v_cmp_eq_f64_e32 vcc_lo, v[1:2], v[3:4]
	v_cmp_lt_f64_e64 s6, v[1:2], v[3:4]
	s_waitcnt lgkmcnt(0)
	v_cmp_gt_i32_e64 s7, v6, v7
	s_delay_alu instid0(VALU_DEP_1)
	s_and_b32 s7, vcc_lo, s7
	s_delay_alu instid0(VALU_DEP_2) | instid1(SALU_CYCLE_1)
	s_or_b32 s6, s6, s7
	s_delay_alu instid0(SALU_CYCLE_1)
	s_and_b32 exec_lo, exec_lo, s6
	s_cbranch_execz .LBB3_122
; %bb.121:                              ;   in Loop: Header=BB3_6 Depth=1
	ds_store_b64 v17, v[3:4]
	ds_store_b32 v18, v7
.LBB3_122:                              ;   in Loop: Header=BB3_6 Depth=1
	s_or_b32 exec_lo, exec_lo, s39
.LBB3_123:                              ;   in Loop: Header=BB3_6 Depth=1
	s_and_saveexec_b32 s6, s2
	s_cbranch_execz .LBB3_125
; %bb.124:                              ;   in Loop: Header=BB3_6 Depth=1
	ds_load_b64 v[1:2], v5
	s_waitcnt lgkmcnt(0)
	ds_store_b64 v5, v[1:2] offset:3088
.LBB3_125:                              ;   in Loop: Header=BB3_6 Depth=1
	s_or_b32 exec_lo, exec_lo, s6
	ds_load_b32 v7, v5 offset:3096
	s_waitcnt lgkmcnt(0)
	v_cmp_gt_i32_e32 vcc_lo, 1, v7
	s_cbranch_vccnz .LBB3_170
; %bb.126:                              ;   in Loop: Header=BB3_6 Depth=1
	v_mov_b32_e32 v1, 0
	v_mov_b32_e32 v2, 0
	v_bfrev_b32_e32 v6, -2
	s_mov_b32 s7, exec_lo
	v_cmpx_gt_i32_e64 v7, v0
	s_cbranch_execz .LBB3_130
; %bb.127:                              ;   in Loop: Header=BB3_6 Depth=1
	s_lshl_b64 s[68:69], s[40:41], 3
	v_dual_mov_b32 v1, 0 :: v_dual_mov_b32 v8, v0
	v_add_co_u32 v3, vcc_lo, v21, s68
	v_add_co_ci_u32_e32 v4, vcc_lo, s69, v22, vcc_lo
	v_bfrev_b32_e32 v6, -2
	v_mov_b32_e32 v2, 0
	s_mov_b32 s39, 0
	.p2align	6
.LBB3_128:                              ;   Parent Loop BB3_6 Depth=1
                                        ; =>  This Inner Loop Header: Depth=2
	global_load_b64 v[9:10], v[3:4], off
	v_cmp_eq_u32_e32 vcc_lo, 0x7fffffff, v6
	v_add_co_u32 v3, s6, 0x800, v3
	s_delay_alu instid0(VALU_DEP_1) | instskip(SKIP_3) | instid1(VALU_DEP_2)
	v_add_co_ci_u32_e64 v4, s6, 0, v4, s6
	s_waitcnt vmcnt(0)
	v_cmp_lt_f64_e64 s41, v[1:2], |v[9:10]|
	v_and_b32_e32 v10, 0x7fffffff, v10
	s_or_b32 vcc_lo, s41, vcc_lo
	s_delay_alu instid0(VALU_DEP_1) | instskip(SKIP_1) | instid1(VALU_DEP_2)
	v_dual_cndmask_b32 v2, v2, v10 :: v_dual_add_nc_u32 v11, 1, v8
	v_dual_cndmask_b32 v1, v1, v9 :: v_dual_add_nc_u32 v8, 0x100, v8
	v_cndmask_b32_e32 v6, v6, v11, vcc_lo
	s_delay_alu instid0(VALU_DEP_2) | instskip(NEXT) | instid1(VALU_DEP_1)
	v_cmp_ge_i32_e64 s6, v8, v7
	s_or_b32 s39, s6, s39
	s_delay_alu instid0(SALU_CYCLE_1)
	s_and_not1_b32 exec_lo, exec_lo, s39
	s_cbranch_execnz .LBB3_128
; %bb.129:                              ;   in Loop: Header=BB3_6 Depth=1
	s_or_b32 exec_lo, exec_lo, s39
.LBB3_130:                              ;   in Loop: Header=BB3_6 Depth=1
	s_delay_alu instid0(SALU_CYCLE_1)
	s_or_b32 exec_lo, exec_lo, s7
	v_cmp_eq_u32_e32 vcc_lo, 1, v7
	ds_store_b64 v17, v[1:2]
	ds_store_b32 v18, v6
	s_waitcnt lgkmcnt(0)
	s_barrier
	buffer_gl0_inv
	s_cbranch_vccnz .LBB3_167
; %bb.131:                              ;   in Loop: Header=BB3_6 Depth=1
	s_and_saveexec_b32 s7, s0
	s_cbranch_execz .LBB3_137
; %bb.132:                              ;   in Loop: Header=BB3_6 Depth=1
	ds_load_b64 v[3:4], v17 offset:1024
	ds_load_b32 v7, v18 offset:512
	s_mov_b32 s41, exec_lo
	s_waitcnt lgkmcnt(1)
	v_cmp_lt_f64_e64 s39, v[1:2], v[3:4]
	v_cmpx_nlt_f64_e32 v[1:2], v[3:4]
	s_cbranch_execz .LBB3_134
; %bb.133:                              ;   in Loop: Header=BB3_6 Depth=1
	v_cmp_eq_f64_e32 vcc_lo, v[1:2], v[3:4]
	s_waitcnt lgkmcnt(0)
	v_cmp_gt_i32_e64 s6, v6, v7
	s_delay_alu instid0(VALU_DEP_4) | instskip(NEXT) | instid1(VALU_DEP_1)
	s_and_not1_b32 s39, s39, exec_lo
	s_and_b32 s6, vcc_lo, s6
	s_delay_alu instid0(SALU_CYCLE_1) | instskip(NEXT) | instid1(SALU_CYCLE_1)
	s_and_b32 s6, s6, exec_lo
	s_or_b32 s39, s39, s6
.LBB3_134:                              ;   in Loop: Header=BB3_6 Depth=1
	s_or_b32 exec_lo, exec_lo, s41
	s_delay_alu instid0(VALU_DEP_2)
	s_and_saveexec_b32 s6, s39
	s_cbranch_execz .LBB3_136
; %bb.135:                              ;   in Loop: Header=BB3_6 Depth=1
	s_waitcnt lgkmcnt(0)
	v_mov_b32_e32 v6, v7
	v_dual_mov_b32 v1, v3 :: v_dual_mov_b32 v2, v4
	ds_store_b64 v17, v[3:4]
	ds_store_b32 v18, v7
.LBB3_136:                              ;   in Loop: Header=BB3_6 Depth=1
	s_or_b32 exec_lo, exec_lo, s6
.LBB3_137:                              ;   in Loop: Header=BB3_6 Depth=1
	s_delay_alu instid0(SALU_CYCLE_1)
	s_or_b32 exec_lo, exec_lo, s7
	s_waitcnt lgkmcnt(0)
	s_barrier
	buffer_gl0_inv
	s_and_saveexec_b32 s7, s1
	s_cbranch_execz .LBB3_143
; %bb.138:                              ;   in Loop: Header=BB3_6 Depth=1
	ds_load_b64 v[3:4], v17 offset:512
	ds_load_b32 v7, v18 offset:256
	s_mov_b32 s41, exec_lo
	s_waitcnt lgkmcnt(1)
	v_cmp_lt_f64_e64 s39, v[1:2], v[3:4]
	v_cmpx_nlt_f64_e32 v[1:2], v[3:4]
	s_cbranch_execz .LBB3_140
; %bb.139:                              ;   in Loop: Header=BB3_6 Depth=1
	v_cmp_eq_f64_e32 vcc_lo, v[1:2], v[3:4]
	s_waitcnt lgkmcnt(0)
	v_cmp_gt_i32_e64 s6, v6, v7
	s_delay_alu instid0(VALU_DEP_4) | instskip(NEXT) | instid1(VALU_DEP_1)
	s_and_not1_b32 s39, s39, exec_lo
	s_and_b32 s6, vcc_lo, s6
	s_delay_alu instid0(SALU_CYCLE_1) | instskip(NEXT) | instid1(SALU_CYCLE_1)
	s_and_b32 s6, s6, exec_lo
	s_or_b32 s39, s39, s6
.LBB3_140:                              ;   in Loop: Header=BB3_6 Depth=1
	s_or_b32 exec_lo, exec_lo, s41
	s_delay_alu instid0(VALU_DEP_2)
	s_and_saveexec_b32 s6, s39
	s_cbranch_execz .LBB3_142
; %bb.141:                              ;   in Loop: Header=BB3_6 Depth=1
	s_waitcnt lgkmcnt(0)
	v_mov_b32_e32 v6, v7
	v_dual_mov_b32 v1, v3 :: v_dual_mov_b32 v2, v4
	ds_store_b64 v17, v[3:4]
	ds_store_b32 v18, v7
.LBB3_142:                              ;   in Loop: Header=BB3_6 Depth=1
	s_or_b32 exec_lo, exec_lo, s6
.LBB3_143:                              ;   in Loop: Header=BB3_6 Depth=1
	s_delay_alu instid0(SALU_CYCLE_1)
	s_or_b32 exec_lo, exec_lo, s7
	s_waitcnt lgkmcnt(0)
	s_barrier
	buffer_gl0_inv
	s_and_saveexec_b32 s39, s3
	s_cbranch_execz .LBB3_166
; %bb.144:                              ;   in Loop: Header=BB3_6 Depth=1
	ds_load_b64 v[3:4], v17 offset:256
	ds_load_b32 v7, v18 offset:128
	s_mov_b32 s41, exec_lo
	s_waitcnt lgkmcnt(1)
	v_cmp_lt_f64_e64 s7, v[1:2], v[3:4]
	v_cmpx_nlt_f64_e32 v[1:2], v[3:4]
	s_cbranch_execz .LBB3_146
; %bb.145:                              ;   in Loop: Header=BB3_6 Depth=1
	v_cmp_eq_f64_e32 vcc_lo, v[1:2], v[3:4]
	s_waitcnt lgkmcnt(0)
	v_cmp_gt_i32_e64 s6, v6, v7
	s_delay_alu instid0(VALU_DEP_4) | instskip(NEXT) | instid1(VALU_DEP_1)
	s_and_not1_b32 s7, s7, exec_lo
	s_and_b32 s6, vcc_lo, s6
	s_delay_alu instid0(SALU_CYCLE_1) | instskip(NEXT) | instid1(SALU_CYCLE_1)
	s_and_b32 s6, s6, exec_lo
	s_or_b32 s7, s7, s6
.LBB3_146:                              ;   in Loop: Header=BB3_6 Depth=1
	s_or_b32 exec_lo, exec_lo, s41
	s_delay_alu instid0(VALU_DEP_2)
	s_and_saveexec_b32 s6, s7
	s_cbranch_execz .LBB3_148
; %bb.147:                              ;   in Loop: Header=BB3_6 Depth=1
	v_dual_mov_b32 v1, v3 :: v_dual_mov_b32 v2, v4
	s_waitcnt lgkmcnt(0)
	v_mov_b32_e32 v6, v7
	ds_store_b64 v17, v[3:4]
	ds_store_b32 v18, v7
.LBB3_148:                              ;   in Loop: Header=BB3_6 Depth=1
	s_or_b32 exec_lo, exec_lo, s6
	ds_load_b64 v[3:4], v17 offset:128
	s_waitcnt lgkmcnt(1)
	ds_load_b32 v7, v18 offset:64
	s_mov_b32 s41, exec_lo
	s_waitcnt lgkmcnt(1)
	v_cmp_lt_f64_e64 s7, v[1:2], v[3:4]
	v_cmpx_nlt_f64_e32 v[1:2], v[3:4]
	s_cbranch_execz .LBB3_150
; %bb.149:                              ;   in Loop: Header=BB3_6 Depth=1
	v_cmp_eq_f64_e32 vcc_lo, v[1:2], v[3:4]
	s_waitcnt lgkmcnt(0)
	v_cmp_gt_i32_e64 s6, v6, v7
	s_delay_alu instid0(VALU_DEP_4) | instskip(NEXT) | instid1(VALU_DEP_1)
	s_and_not1_b32 s7, s7, exec_lo
	s_and_b32 s6, vcc_lo, s6
	s_delay_alu instid0(SALU_CYCLE_1) | instskip(NEXT) | instid1(SALU_CYCLE_1)
	s_and_b32 s6, s6, exec_lo
	s_or_b32 s7, s7, s6
.LBB3_150:                              ;   in Loop: Header=BB3_6 Depth=1
	s_or_b32 exec_lo, exec_lo, s41
	s_delay_alu instid0(VALU_DEP_2)
	s_and_saveexec_b32 s6, s7
	s_cbranch_execz .LBB3_152
; %bb.151:                              ;   in Loop: Header=BB3_6 Depth=1
	v_dual_mov_b32 v1, v3 :: v_dual_mov_b32 v2, v4
	s_waitcnt lgkmcnt(0)
	v_mov_b32_e32 v6, v7
	ds_store_b64 v17, v[3:4]
	ds_store_b32 v18, v7
.LBB3_152:                              ;   in Loop: Header=BB3_6 Depth=1
	s_or_b32 exec_lo, exec_lo, s6
	ds_load_b64 v[3:4], v17 offset:64
	s_waitcnt lgkmcnt(1)
	;; [unrolled: 31-line block ×5, first 2 shown]
	ds_load_b32 v7, v18 offset:4
	s_waitcnt lgkmcnt(1)
	v_cmp_eq_f64_e32 vcc_lo, v[1:2], v[3:4]
	v_cmp_lt_f64_e64 s6, v[1:2], v[3:4]
	s_waitcnt lgkmcnt(0)
	v_cmp_gt_i32_e64 s7, v6, v7
	s_delay_alu instid0(VALU_DEP_1)
	s_and_b32 s7, vcc_lo, s7
	s_delay_alu instid0(VALU_DEP_2) | instid1(SALU_CYCLE_1)
	s_or_b32 s6, s6, s7
	s_delay_alu instid0(SALU_CYCLE_1)
	s_and_b32 exec_lo, exec_lo, s6
	s_cbranch_execz .LBB3_166
; %bb.165:                              ;   in Loop: Header=BB3_6 Depth=1
	ds_store_b64 v17, v[3:4]
	ds_store_b32 v18, v7
.LBB3_166:                              ;   in Loop: Header=BB3_6 Depth=1
	s_or_b32 exec_lo, exec_lo, s39
.LBB3_167:                              ;   in Loop: Header=BB3_6 Depth=1
	s_and_saveexec_b32 s6, s2
	s_cbranch_execz .LBB3_169
; %bb.168:                              ;   in Loop: Header=BB3_6 Depth=1
	ds_load_b64 v[1:2], v5 offset:3088
	ds_load_b64 v[3:4], v5
	s_waitcnt lgkmcnt(0)
	v_cmp_lt_f64_e32 vcc_lo, v[1:2], v[3:4]
	v_dual_cndmask_b32 v2, v2, v4 :: v_dual_cndmask_b32 v1, v1, v3
	ds_store_b64 v5, v[1:2] offset:3088
.LBB3_169:                              ;   in Loop: Header=BB3_6 Depth=1
	s_or_b32 exec_lo, exec_lo, s6
.LBB3_170:                              ;   in Loop: Header=BB3_6 Depth=1
	s_waitcnt lgkmcnt(0)
	s_barrier
	buffer_gl0_inv
	ds_load_b128 v[6:9], v5 offset:3072
	ds_load_b64 v[1:2], v5 offset:3088
	s_waitcnt lgkmcnt(0)
	v_div_scale_f64 v[3:4], null, v[1:2], v[1:2], v[8:9]
	s_delay_alu instid0(VALU_DEP_1) | instskip(SKIP_2) | instid1(VALU_DEP_1)
	v_rcp_f64_e32 v[10:11], v[3:4]
	s_waitcnt_depctr 0xfff
	v_fma_f64 v[12:13], -v[3:4], v[10:11], 1.0
	v_fma_f64 v[10:11], v[10:11], v[12:13], v[10:11]
	s_delay_alu instid0(VALU_DEP_1) | instskip(NEXT) | instid1(VALU_DEP_1)
	v_fma_f64 v[12:13], -v[3:4], v[10:11], 1.0
	v_fma_f64 v[10:11], v[10:11], v[12:13], v[10:11]
	v_div_scale_f64 v[12:13], vcc_lo, v[8:9], v[1:2], v[8:9]
	s_delay_alu instid0(VALU_DEP_1) | instskip(NEXT) | instid1(VALU_DEP_1)
	v_mul_f64 v[14:15], v[12:13], v[10:11]
	v_fma_f64 v[3:4], -v[3:4], v[14:15], v[12:13]
	s_delay_alu instid0(VALU_DEP_1) | instskip(SKIP_1) | instid1(VALU_DEP_2)
	v_div_fmas_f64 v[3:4], v[3:4], v[10:11], v[14:15]
	v_mul_f64 v[10:11], v[8:9], s[36:37]
	v_div_fixup_f64 v[3:4], v[3:4], v[1:2], v[8:9]
	s_delay_alu instid0(VALU_DEP_1) | instskip(NEXT) | instid1(VALU_DEP_1)
	v_mul_f64 v[3:4], v[10:11], v[3:4]
	v_cmp_ge_f64_e32 vcc_lo, v[6:7], v[3:4]
	s_cbranch_vccnz .LBB3_176
; %bb.171:                              ;   in Loop: Header=BB3_6 Depth=1
	ds_load_b32 v6, v5 offset:3096
	v_mul_f64 v[1:2], v[1:2], s[36:37]
	s_waitcnt lgkmcnt(0)
	v_readfirstlane_b32 s6, v6
	s_delay_alu instid0(VALU_DEP_1) | instskip(NEXT) | instid1(SALU_CYCLE_1)
	s_add_i32 s6, s6, s40
	s_ashr_i32 s7, s6, 31
	s_delay_alu instid0(SALU_CYCLE_1) | instskip(NEXT) | instid1(SALU_CYCLE_1)
	s_lshl_b64 s[6:7], s[6:7], 3
	s_add_u32 s6, s45, s6
	s_addc_u32 s7, s46, s7
	global_load_b64 v[3:4], v5, s[6:7]
	v_readfirstlane_b32 s6, v6
	s_waitcnt vmcnt(0)
	v_cmp_nge_f64_e64 s7, |v[3:4]|, v[1:2]
	s_delay_alu instid0(VALU_DEP_1)
	s_and_b32 vcc_lo, exec_lo, s7
	s_cbranch_vccnz .LBB3_217
; %bb.172:                              ;   in Loop: Header=BB3_6 Depth=1
	s_and_saveexec_b32 s7, s5
	s_cbranch_execz .LBB3_175
; %bb.173:                              ;   in Loop: Header=BB3_6 Depth=1
	v_dual_mov_b32 v6, v0 :: v_dual_add_nc_u32 v1, s38, v0
	v_add_nc_u32_e32 v3, s40, v0
	s_mov_b32 s39, 0
	s_delay_alu instid0(VALU_DEP_2) | instskip(NEXT) | instid1(VALU_DEP_2)
	v_ashrrev_i32_e32 v2, 31, v1
	v_ashrrev_i32_e32 v4, 31, v3
	s_delay_alu instid0(VALU_DEP_2) | instskip(NEXT) | instid1(VALU_DEP_2)
	v_lshlrev_b64 v[1:2], 3, v[1:2]
	v_lshlrev_b64 v[3:4], 3, v[3:4]
	s_delay_alu instid0(VALU_DEP_2) | instskip(NEXT) | instid1(VALU_DEP_3)
	v_add_co_u32 v1, vcc_lo, s59, v1
	v_add_co_ci_u32_e32 v2, vcc_lo, s60, v2, vcc_lo
	s_delay_alu instid0(VALU_DEP_3) | instskip(NEXT) | instid1(VALU_DEP_4)
	v_add_co_u32 v3, vcc_lo, s59, v3
	v_add_co_ci_u32_e32 v4, vcc_lo, s60, v4, vcc_lo
	.p2align	6
.LBB3_174:                              ;   Parent Loop BB3_6 Depth=1
                                        ; =>  This Inner Loop Header: Depth=2
	global_load_b64 v[7:8], v[3:4], off
	v_add_nc_u32_e32 v6, 0x100, v6
	v_add_co_u32 v3, vcc_lo, 0x800, v3
	v_add_co_ci_u32_e32 v4, vcc_lo, 0, v4, vcc_lo
	s_delay_alu instid0(VALU_DEP_3) | instskip(SKIP_4) | instid1(VALU_DEP_1)
	v_cmp_lt_i32_e32 vcc_lo, s8, v6
	s_or_b32 s39, vcc_lo, s39
	s_waitcnt vmcnt(0)
	global_store_b64 v[1:2], v[7:8], off
	v_add_co_u32 v1, s5, 0x800, v1
	v_add_co_ci_u32_e64 v2, s5, 0, v2, s5
	s_and_not1_b32 exec_lo, exec_lo, s39
	s_cbranch_execnz .LBB3_174
.LBB3_175:                              ;   in Loop: Header=BB3_6 Depth=1
	s_or_b32 exec_lo, exec_lo, s7
	s_mov_b32 s7, -1
	s_mov_b32 s40, -1
	s_waitcnt_vscnt null, 0x0
	s_barrier
	buffer_gl0_inv
	s_add_i32 s39, s40, s8
	s_delay_alu instid0(SALU_CYCLE_1) | instskip(NEXT) | instid1(SALU_CYCLE_1)
	s_add_i32 s41, s39, 1
	s_cmp_eq_u32 s6, s41
	s_cbranch_scc0 .LBB3_177
	s_branch .LBB3_192
.LBB3_176:                              ;   in Loop: Header=BB3_6 Depth=1
	s_mov_b32 s7, -1
	s_mov_b32 s40, -1
	s_mov_b32 s6, s8
	s_add_i32 s39, s40, s8
	s_delay_alu instid0(SALU_CYCLE_1) | instskip(NEXT) | instid1(SALU_CYCLE_1)
	s_add_i32 s41, s39, 1
	s_cmp_eq_u32 s6, s41
	s_cbranch_scc1 .LBB3_192
.LBB3_177:                              ;   in Loop: Header=BB3_6 Depth=1
	s_and_saveexec_b32 s5, s2
	s_cbranch_execz .LBB3_179
; %bb.178:                              ;   in Loop: Header=BB3_6 Depth=1
	s_mul_i32 s68, s41, s49
	s_delay_alu instid0(SALU_CYCLE_1) | instskip(NEXT) | instid1(SALU_CYCLE_1)
	s_ashr_i32 s69, s68, 31
	s_lshl_b64 s[68:69], s[68:69], 3
	s_delay_alu instid0(SALU_CYCLE_1) | instskip(SKIP_3) | instid1(SALU_CYCLE_1)
	s_add_u32 s68, s16, s68
	s_addc_u32 s69, s33, s69
	global_load_b64 v[1:2], v5, s[68:69]
	s_mul_i32 s68, s6, s49
	s_ashr_i32 s69, s68, 31
	s_delay_alu instid0(SALU_CYCLE_1) | instskip(NEXT) | instid1(SALU_CYCLE_1)
	s_lshl_b64 s[68:69], s[68:69], 3
	s_add_u32 s68, s16, s68
	s_addc_u32 s69, s33, s69
	s_waitcnt vmcnt(0)
	global_store_b64 v5, v[1:2], s[68:69]
.LBB3_179:                              ;   in Loop: Header=BB3_6 Depth=1
	s_or_b32 exec_lo, exec_lo, s5
	s_sub_i32 s67, s39, s6
	s_mov_b32 s68, exec_lo
	v_cmpx_gt_i32_e64 s67, v0
	s_cbranch_execz .LBB3_182
; %bb.180:                              ;   in Loop: Header=BB3_6 Depth=1
	v_add_nc_u32_e32 v3, s6, v16
	s_mul_i32 s5, s41, s17
	s_mov_b32 s70, 0
	s_add_i32 s69, s6, s5
	s_delay_alu instid0(SALU_CYCLE_1)
	s_add_i32 s69, s69, 1
	v_mad_u64_u32 v[1:2], null, s17, v3, s[6:7]
	v_mov_b32_e32 v3, v0
	.p2align	6
.LBB3_181:                              ;   Parent Loop BB3_6 Depth=1
                                        ; =>  This Inner Loop Header: Depth=2
	s_delay_alu instid0(VALU_DEP_1) | instskip(NEXT) | instid1(VALU_DEP_3)
	v_add_nc_u32_e32 v6, s69, v3
	v_ashrrev_i32_e32 v2, 31, v1
	v_add_nc_u32_e32 v3, 0x100, v3
	s_delay_alu instid0(VALU_DEP_3) | instskip(NEXT) | instid1(VALU_DEP_3)
	v_ashrrev_i32_e32 v7, 31, v6
	v_lshlrev_b64 v[8:9], 3, v[1:2]
	v_add_nc_u32_e32 v1, s63, v1
	s_delay_alu instid0(VALU_DEP_3) | instskip(NEXT) | instid1(VALU_DEP_3)
	v_lshlrev_b64 v[6:7], 3, v[6:7]
	v_add_co_u32 v8, s5, s16, v8
	s_delay_alu instid0(VALU_DEP_1) | instskip(NEXT) | instid1(VALU_DEP_3)
	v_add_co_ci_u32_e64 v9, s5, s33, v9, s5
	v_add_co_u32 v6, vcc_lo, s16, v6
	s_delay_alu instid0(VALU_DEP_4)
	v_add_co_ci_u32_e32 v7, vcc_lo, s33, v7, vcc_lo
	v_cmp_le_i32_e32 vcc_lo, s67, v3
	global_load_b64 v[6:7], v[6:7], off
	s_or_b32 s70, vcc_lo, s70
	s_waitcnt vmcnt(0)
	global_store_b64 v[8:9], v[6:7], off
	s_and_not1_b32 exec_lo, exec_lo, s70
	s_cbranch_execnz .LBB3_181
.LBB3_182:                              ;   in Loop: Header=BB3_6 Depth=1
	s_or_b32 exec_lo, exec_lo, s68
	s_delay_alu instid0(SALU_CYCLE_1)
	s_mov_b32 s67, exec_lo
	v_cmpx_gt_i32_e64 s6, v0
	s_cbranch_execz .LBB3_185
; %bb.183:                              ;   in Loop: Header=BB3_6 Depth=1
	v_mad_u64_u32 v[1:2], null, s6, s17, v[0:1]
	v_mov_b32_e32 v6, v0
	s_mov_b32 s68, 0
	s_delay_alu instid0(VALU_DEP_2) | instskip(SKIP_1) | instid1(VALU_DEP_1)
	v_mad_u64_u32 v[3:4], null, s41, s17, v[0:1]
	v_ashrrev_i32_e32 v2, 31, v1
	v_lshlrev_b64 v[1:2], 3, v[1:2]
	s_delay_alu instid0(VALU_DEP_3) | instskip(NEXT) | instid1(VALU_DEP_2)
	v_ashrrev_i32_e32 v4, 31, v3
	v_add_co_u32 v1, vcc_lo, s61, v1
	s_delay_alu instid0(VALU_DEP_2) | instskip(NEXT) | instid1(VALU_DEP_4)
	v_lshlrev_b64 v[3:4], 3, v[3:4]
	v_add_co_ci_u32_e32 v2, vcc_lo, s62, v2, vcc_lo
	s_delay_alu instid0(VALU_DEP_2) | instskip(NEXT) | instid1(VALU_DEP_3)
	v_add_co_u32 v3, vcc_lo, s61, v3
	v_add_co_ci_u32_e32 v4, vcc_lo, s62, v4, vcc_lo
	.p2align	6
.LBB3_184:                              ;   Parent Loop BB3_6 Depth=1
                                        ; =>  This Inner Loop Header: Depth=2
	global_load_b64 v[7:8], v[3:4], off
	v_add_nc_u32_e32 v6, 0x100, v6
	v_add_co_u32 v3, vcc_lo, 0x800, v3
	v_add_co_ci_u32_e32 v4, vcc_lo, 0, v4, vcc_lo
	s_delay_alu instid0(VALU_DEP_3) | instskip(SKIP_4) | instid1(VALU_DEP_1)
	v_cmp_le_i32_e32 vcc_lo, s6, v6
	s_or_b32 s68, vcc_lo, s68
	s_waitcnt vmcnt(0)
	global_store_b64 v[1:2], v[7:8], off
	v_add_co_u32 v1, s5, 0x800, v1
	v_add_co_ci_u32_e64 v2, s5, 0, v2, s5
	s_and_not1_b32 exec_lo, exec_lo, s68
	s_cbranch_execnz .LBB3_184
.LBB3_185:                              ;   in Loop: Header=BB3_6 Depth=1
	s_or_b32 exec_lo, exec_lo, s67
	s_not_b32 s5, s8
	s_mov_b32 s67, exec_lo
	s_add_i32 s5, s5, s18
	s_waitcnt_vscnt null, 0x0
	s_barrier
	buffer_gl0_inv
	v_cmpx_gt_i32_e64 s5, v0
	s_cbranch_execz .LBB3_188
; %bb.186:                              ;   in Loop: Header=BB3_6 Depth=1
	v_dual_mov_b32 v2, v0 :: v_dual_add_nc_u32 v1, s8, v16
	s_ashr_i32 s68, s39, 31
	s_mov_b32 s69, 0
	s_delay_alu instid0(VALU_DEP_1)
	v_mul_lo_u32 v1, s17, v1
	.p2align	6
.LBB3_187:                              ;   Parent Loop BB3_6 Depth=1
                                        ; =>  This Inner Loop Header: Depth=2
	s_delay_alu instid0(VALU_DEP_1) | instskip(SKIP_3) | instid1(VALU_DEP_4)
	v_add_nc_u32_e32 v3, s6, v1
	v_ashrrev_i32_e32 v7, 31, v1
	v_add_co_u32 v6, vcc_lo, v1, s39
	v_add_nc_u32_e32 v2, 0x100, v2
	v_ashrrev_i32_e32 v4, 31, v3
	s_delay_alu instid0(VALU_DEP_4) | instskip(SKIP_1) | instid1(VALU_DEP_3)
	v_add_co_ci_u32_e32 v7, vcc_lo, s68, v7, vcc_lo
	v_add_nc_u32_e32 v1, s63, v1
	v_lshlrev_b64 v[3:4], 3, v[3:4]
	s_delay_alu instid0(VALU_DEP_3) | instskip(NEXT) | instid1(VALU_DEP_2)
	v_lshlrev_b64 v[6:7], 3, v[6:7]
	v_add_co_u32 v3, vcc_lo, s16, v3
	s_delay_alu instid0(VALU_DEP_3) | instskip(NEXT) | instid1(VALU_DEP_3)
	v_add_co_ci_u32_e32 v4, vcc_lo, s33, v4, vcc_lo
	v_add_co_u32 v6, vcc_lo, s51, v6
	s_delay_alu instid0(VALU_DEP_4)
	v_add_co_ci_u32_e32 v7, vcc_lo, s52, v7, vcc_lo
	v_cmp_le_i32_e32 vcc_lo, s5, v2
	s_clause 0x1
	global_load_b64 v[8:9], v[3:4], off
	global_load_b64 v[10:11], v[6:7], off
	s_waitcnt vmcnt(1)
	global_store_b64 v[6:7], v[8:9], off
	s_waitcnt vmcnt(0)
	global_store_b64 v[3:4], v[10:11], off
	s_or_b32 s69, vcc_lo, s69
	s_delay_alu instid0(SALU_CYCLE_1)
	s_and_not1_b32 exec_lo, exec_lo, s69
	s_cbranch_execnz .LBB3_187
.LBB3_188:                              ;   in Loop: Header=BB3_6 Depth=1
	s_or_b32 exec_lo, exec_lo, s67
	s_sub_i32 s5, s18, s41
	s_mov_b32 s41, exec_lo
	v_cmpx_gt_i32_e64 s5, v0
	s_cbranch_execz .LBB3_191
; %bb.189:                              ;   in Loop: Header=BB3_6 Depth=1
	v_add3_u32 v1, s8, s40, v25
	v_mov_b32_e32 v2, v0
	s_ashr_i32 s40, s39, 31
	s_mov_b32 s67, 0
	s_delay_alu instid0(VALU_DEP_2)
	v_mul_lo_u32 v1, s18, v1
	.p2align	6
.LBB3_190:                              ;   Parent Loop BB3_6 Depth=1
                                        ; =>  This Inner Loop Header: Depth=2
	s_delay_alu instid0(VALU_DEP_1) | instskip(SKIP_3) | instid1(VALU_DEP_4)
	v_add_nc_u32_e32 v3, s6, v1
	v_ashrrev_i32_e32 v7, 31, v1
	v_add_co_u32 v6, vcc_lo, v1, s39
	v_add_nc_u32_e32 v2, 0x100, v2
	v_ashrrev_i32_e32 v4, 31, v3
	s_delay_alu instid0(VALU_DEP_4) | instskip(SKIP_1) | instid1(VALU_DEP_3)
	v_add_co_ci_u32_e32 v7, vcc_lo, s40, v7, vcc_lo
	v_add_nc_u32_e32 v1, s64, v1
	v_lshlrev_b64 v[3:4], 3, v[3:4]
	s_delay_alu instid0(VALU_DEP_3) | instskip(NEXT) | instid1(VALU_DEP_2)
	v_lshlrev_b64 v[6:7], 3, v[6:7]
	v_add_co_u32 v3, vcc_lo, s45, v3
	s_delay_alu instid0(VALU_DEP_3) | instskip(NEXT) | instid1(VALU_DEP_3)
	v_add_co_ci_u32_e32 v4, vcc_lo, s46, v4, vcc_lo
	v_add_co_u32 v6, vcc_lo, s53, v6
	s_delay_alu instid0(VALU_DEP_4)
	v_add_co_ci_u32_e32 v7, vcc_lo, s54, v7, vcc_lo
	v_cmp_le_i32_e32 vcc_lo, s5, v2
	s_clause 0x1
	global_load_b64 v[8:9], v[3:4], off
	global_load_b64 v[10:11], v[6:7], off
	s_waitcnt vmcnt(1)
	global_store_b64 v[6:7], v[8:9], off
	s_waitcnt vmcnt(0)
	global_store_b64 v[3:4], v[10:11], off
	s_or_b32 s67, vcc_lo, s67
	s_delay_alu instid0(SALU_CYCLE_1)
	s_and_not1_b32 exec_lo, exec_lo, s67
	s_cbranch_execnz .LBB3_190
.LBB3_191:                              ;   in Loop: Header=BB3_6 Depth=1
	s_or_b32 exec_lo, exec_lo, s41
	s_waitcnt_vscnt null, 0x0
	s_barrier
	buffer_gl0_inv
.LBB3_192:                              ;   in Loop: Header=BB3_6 Depth=1
	s_xor_b32 s5, s7, -1
                                        ; implicit-def: $sgpr7
	s_delay_alu instid0(SALU_CYCLE_1)
	s_and_b32 vcc_lo, exec_lo, s5
	s_mov_b32 s5, -1
	s_cbranch_vccnz .LBB3_196
; %bb.193:                              ;   in Loop: Header=BB3_6 Depth=1
	s_and_b32 vcc_lo, exec_lo, s5
	s_cbranch_vccnz .LBB3_204
.LBB3_194:                              ;   in Loop: Header=BB3_6 Depth=1
.LBB3_195:                              ;   in Loop: Header=BB3_6 Depth=1
	s_and_saveexec_b32 s38, s2
	s_cbranch_execz .LBB3_4
	s_branch .LBB3_213
.LBB3_196:                              ;   in Loop: Header=BB3_6 Depth=1
	s_cmp_lt_i32 s8, 2
	s_cbranch_scc1 .LBB3_201
; %bb.197:                              ;   in Loop: Header=BB3_6 Depth=1
	s_add_i32 s7, s8, -2
	s_mov_b32 s39, exec_lo
	v_cmpx_ge_i32_e64 s7, v0
	s_cbranch_execz .LBB3_200
; %bb.198:                              ;   in Loop: Header=BB3_6 Depth=1
	s_add_i32 s67, s8, -1
	s_ashr_i32 s5, s38, 31
	s_ashr_i32 s71, s8, 31
	s_add_u32 s40, s38, s8
	s_addc_u32 s41, s5, s71
	s_delay_alu instid0(SALU_CYCLE_1) | instskip(NEXT) | instid1(SALU_CYCLE_1)
	s_lshl_b64 s[40:41], s[40:41], 3
	s_add_u32 s40, s55, s40
	s_addc_u32 s41, s56, s41
	s_add_i32 s68, s38, s8
	s_delay_alu instid0(SALU_CYCLE_1) | instskip(NEXT) | instid1(SALU_CYCLE_1)
	s_ashr_i32 s69, s68, 31
	s_lshl_b64 s[68:69], s[68:69], 3
	s_delay_alu instid0(SALU_CYCLE_1)
	s_add_u32 s68, s45, s68
	s_addc_u32 s69, s46, s69
	s_add_i32 s5, s66, -1
	s_clause 0x1
	global_load_b64 v[6:7], v5, s[40:41]
	global_load_b64 v[1:2], v5, s[68:69]
	s_mul_i32 s72, s5, s18
	s_mov_b32 s40, 0
	s_ashr_i32 s5, s72, 31
	s_add_u32 s70, s72, s8
	s_addc_u32 s71, s5, s71
	s_delay_alu instid0(SALU_CYCLE_1) | instskip(NEXT) | instid1(SALU_CYCLE_1)
	s_lshl_b64 s[70:71], s[70:71], 3
	s_add_u32 s70, s55, s70
	s_addc_u32 s71, s56, s71
	global_load_b64 v[3:4], v5, s[70:71]
	s_waitcnt vmcnt(1)
	v_div_scale_f64 v[8:9], null, v[6:7], v[6:7], v[1:2]
	v_div_scale_f64 v[30:31], vcc_lo, v[1:2], v[6:7], v[1:2]
	s_waitcnt vmcnt(0)
	v_div_scale_f64 v[10:11], null, v[6:7], v[6:7], v[3:4]
	s_delay_alu instid0(VALU_DEP_3) | instskip(NEXT) | instid1(VALU_DEP_1)
	v_rcp_f64_e32 v[12:13], v[8:9]
	v_rcp_f64_e32 v[14:15], v[10:11]
	s_waitcnt_depctr 0xfff
	v_fma_f64 v[26:27], -v[8:9], v[12:13], 1.0
	v_fma_f64 v[28:29], -v[10:11], v[14:15], 1.0
	s_delay_alu instid0(VALU_DEP_2) | instskip(NEXT) | instid1(VALU_DEP_2)
	v_fma_f64 v[12:13], v[12:13], v[26:27], v[12:13]
	v_fma_f64 v[14:15], v[14:15], v[28:29], v[14:15]
	s_delay_alu instid0(VALU_DEP_2) | instskip(NEXT) | instid1(VALU_DEP_2)
	v_fma_f64 v[26:27], -v[8:9], v[12:13], 1.0
	v_fma_f64 v[28:29], -v[10:11], v[14:15], 1.0
	s_delay_alu instid0(VALU_DEP_2) | instskip(SKIP_1) | instid1(VALU_DEP_3)
	v_fma_f64 v[12:13], v[12:13], v[26:27], v[12:13]
	v_div_scale_f64 v[26:27], s5, v[3:4], v[6:7], v[3:4]
	v_fma_f64 v[14:15], v[14:15], v[28:29], v[14:15]
	s_delay_alu instid0(VALU_DEP_3) | instskip(NEXT) | instid1(VALU_DEP_2)
	v_mul_f64 v[28:29], v[30:31], v[12:13]
	v_mul_f64 v[32:33], v[26:27], v[14:15]
	s_delay_alu instid0(VALU_DEP_2) | instskip(NEXT) | instid1(VALU_DEP_2)
	v_fma_f64 v[8:9], -v[8:9], v[28:29], v[30:31]
	v_fma_f64 v[10:11], -v[10:11], v[32:33], v[26:27]
	s_delay_alu instid0(VALU_DEP_2) | instskip(SKIP_1) | instid1(VALU_DEP_2)
	v_div_fmas_f64 v[8:9], v[8:9], v[12:13], v[28:29]
	s_mov_b32 vcc_lo, s5
	v_div_fmas_f64 v[10:11], v[10:11], v[14:15], v[32:33]
	s_delay_alu instid0(VALU_DEP_2) | instskip(NEXT) | instid1(VALU_DEP_2)
	v_div_fixup_f64 v[1:2], v[8:9], v[6:7], v[1:2]
	v_div_fixup_f64 v[3:4], v[10:11], v[6:7], v[3:4]
	s_delay_alu instid0(VALU_DEP_1) | instskip(NEXT) | instid1(VALU_DEP_1)
	v_fma_f64 v[8:9], v[1:2], v[3:4], -1.0
	v_mul_f64 v[6:7], v[6:7], v[8:9]
	s_delay_alu instid0(VALU_DEP_1) | instskip(NEXT) | instid1(VALU_DEP_1)
	v_div_scale_f64 v[8:9], null, v[6:7], v[6:7], 1.0
	v_rcp_f64_e32 v[10:11], v[8:9]
	s_waitcnt_depctr 0xfff
	v_fma_f64 v[12:13], -v[8:9], v[10:11], 1.0
	s_delay_alu instid0(VALU_DEP_1) | instskip(NEXT) | instid1(VALU_DEP_1)
	v_fma_f64 v[10:11], v[10:11], v[12:13], v[10:11]
	v_fma_f64 v[12:13], -v[8:9], v[10:11], 1.0
	s_delay_alu instid0(VALU_DEP_1) | instskip(SKIP_1) | instid1(VALU_DEP_1)
	v_fma_f64 v[10:11], v[10:11], v[12:13], v[10:11]
	v_div_scale_f64 v[12:13], vcc_lo, 1.0, v[6:7], 1.0
	v_mul_f64 v[14:15], v[12:13], v[10:11]
	s_delay_alu instid0(VALU_DEP_1) | instskip(SKIP_1) | instid1(VALU_DEP_1)
	v_fma_f64 v[8:9], -v[8:9], v[14:15], v[12:13]
	v_mad_u64_u32 v[12:13], null, s67, s17, v[0:1]
	v_ashrrev_i32_e32 v13, 31, v12
	s_delay_alu instid0(VALU_DEP_3) | instskip(SKIP_2) | instid1(VALU_DEP_1)
	v_div_fmas_f64 v[8:9], v[8:9], v[10:11], v[14:15]
	v_mad_u64_u32 v[10:11], null, s8, s17, v[0:1]
	v_add_nc_u32_e32 v14, s38, v0
	v_ashrrev_i32_e32 v15, 31, v14
	s_delay_alu instid0(VALU_DEP_3) | instskip(NEXT) | instid1(VALU_DEP_2)
	v_ashrrev_i32_e32 v11, 31, v10
	v_lshlrev_b64 v[14:15], 3, v[14:15]
	v_div_fixup_f64 v[6:7], v[8:9], v[6:7], 1.0
	s_delay_alu instid0(VALU_DEP_3) | instskip(SKIP_2) | instid1(VALU_DEP_3)
	v_lshlrev_b64 v[8:9], 3, v[10:11]
	v_lshlrev_b64 v[10:11], 3, v[12:13]
	v_add_nc_u32_e32 v12, s72, v0
	v_add_co_u32 v8, vcc_lo, s61, v8
	s_delay_alu instid0(VALU_DEP_2) | instskip(SKIP_2) | instid1(VALU_DEP_3)
	v_ashrrev_i32_e32 v13, 31, v12
	v_add_co_ci_u32_e32 v9, vcc_lo, s62, v9, vcc_lo
	v_add_co_u32 v10, vcc_lo, s61, v10
	v_lshlrev_b64 v[26:27], 3, v[12:13]
	v_add_co_ci_u32_e32 v11, vcc_lo, s62, v11, vcc_lo
	v_add_co_u32 v12, vcc_lo, s59, v14
	v_add_co_ci_u32_e32 v13, vcc_lo, s60, v15, vcc_lo
	s_delay_alu instid0(VALU_DEP_4)
	v_add_co_u32 v14, vcc_lo, s59, v26
	v_add_co_ci_u32_e32 v15, vcc_lo, s60, v27, vcc_lo
	v_mov_b32_e32 v26, v0
	s_set_inst_prefetch_distance 0x1
	.p2align	6
.LBB3_199:                              ;   Parent Loop BB3_6 Depth=1
                                        ; =>  This Inner Loop Header: Depth=2
	global_load_b64 v[27:28], v[14:15], off
	global_load_b64 v[29:30], v[12:13], off
	v_add_nc_u32_e32 v26, 0x100, v26
	s_delay_alu instid0(VALU_DEP_1) | instskip(SKIP_3) | instid1(VALU_DEP_1)
	v_cmp_lt_i32_e32 vcc_lo, s7, v26
	s_or_b32 s40, vcc_lo, s40
	s_waitcnt vmcnt(0)
	v_fma_f64 v[27:28], v[1:2], v[27:28], -v[29:30]
	v_mul_f64 v[27:28], v[6:7], v[27:28]
	global_store_b64 v[10:11], v[27:28], off
	global_load_b64 v[27:28], v[12:13], off
	global_load_b64 v[29:30], v[14:15], off
	v_add_co_u32 v10, s5, 0x800, v10
	s_delay_alu instid0(VALU_DEP_1) | instskip(SKIP_1) | instid1(VALU_DEP_1)
	v_add_co_ci_u32_e64 v11, s5, 0, v11, s5
	v_add_co_u32 v12, s5, 0x800, v12
	v_add_co_ci_u32_e64 v13, s5, 0, v13, s5
	v_add_co_u32 v14, s5, 0x800, v14
	s_delay_alu instid0(VALU_DEP_1) | instskip(SKIP_2) | instid1(VALU_DEP_1)
	v_add_co_ci_u32_e64 v15, s5, 0, v15, s5
	s_waitcnt vmcnt(0)
	v_fma_f64 v[27:28], v[3:4], v[27:28], -v[29:30]
	v_mul_f64 v[27:28], v[6:7], v[27:28]
	global_store_b64 v[8:9], v[27:28], off
	v_add_co_u32 v8, s5, 0x800, v8
	s_delay_alu instid0(VALU_DEP_1)
	v_add_co_ci_u32_e64 v9, s5, 0, v9, s5
	s_and_not1_b32 exec_lo, exec_lo, s40
	s_cbranch_execnz .LBB3_199
.LBB3_200:                              ;   in Loop: Header=BB3_6 Depth=1
	s_set_inst_prefetch_distance 0x2
	s_or_b32 exec_lo, exec_lo, s39
.LBB3_201:                              ;   in Loop: Header=BB3_6 Depth=1
	s_and_saveexec_b32 s5, s2
	s_cbranch_execz .LBB3_203
; %bb.202:                              ;   in Loop: Header=BB3_6 Depth=1
	s_add_i32 s7, s66, -1
	s_add_i32 s39, s8, -1
	s_mul_i32 s7, s7, s18
	s_ashr_i32 s68, s8, 31
	s_ashr_i32 s41, s7, 31
	s_add_u32 s40, s7, s8
	s_addc_u32 s41, s41, s68
	s_delay_alu instid0(SALU_CYCLE_1) | instskip(NEXT) | instid1(SALU_CYCLE_1)
	s_lshl_b64 s[40:41], s[40:41], 3
	s_add_u32 s40, s55, s40
	s_addc_u32 s41, s56, s41
	global_load_b64 v[1:2], v5, s[40:41]
	s_mul_i32 s40, s39, s49
	s_delay_alu instid0(SALU_CYCLE_1) | instskip(NEXT) | instid1(SALU_CYCLE_1)
	s_ashr_i32 s41, s40, 31
	s_lshl_b64 s[40:41], s[40:41], 3
	s_delay_alu instid0(SALU_CYCLE_1)
	s_add_u32 s40, s16, s40
	s_addc_u32 s41, s33, s41
	s_ashr_i32 s7, s38, 31
	s_add_u32 s66, s38, s8
	s_addc_u32 s67, s7, s68
	s_mul_i32 s7, s8, s17
	s_lshl_b64 s[66:67], s[66:67], 3
	s_delay_alu instid0(SALU_CYCLE_1)
	s_add_u32 s66, s55, s66
	s_addc_u32 s67, s56, s67
	s_ashr_i32 s39, s7, 31
	s_waitcnt vmcnt(0)
	global_store_b64 v5, v[1:2], s[40:41]
	global_load_b64 v[1:2], v5, s[66:67]
	s_add_u32 s40, s8, s7
	s_addc_u32 s41, s68, s39
	s_delay_alu instid0(SALU_CYCLE_1) | instskip(NEXT) | instid1(SALU_CYCLE_1)
	s_lshl_b64 s[40:41], s[40:41], 3
	s_add_u32 s40, s57, s40
	s_addc_u32 s41, s58, s41
	s_add_i32 s66, s38, s8
	s_delay_alu instid0(SALU_CYCLE_1) | instskip(NEXT) | instid1(SALU_CYCLE_1)
	s_ashr_i32 s67, s66, 31
	s_lshl_b64 s[66:67], s[66:67], 3
	s_delay_alu instid0(SALU_CYCLE_1)
	s_add_u32 s66, s45, s66
	s_addc_u32 s67, s46, s67
	s_waitcnt vmcnt(0)
	global_store_b64 v5, v[1:2], s[40:41]
	global_load_b64 v[1:2], v5, s[66:67]
	s_add_i32 s40, s7, s8
	s_delay_alu instid0(SALU_CYCLE_1) | instskip(NEXT) | instid1(SALU_CYCLE_1)
	s_ashr_i32 s41, s40, 31
	s_lshl_b64 s[40:41], s[40:41], 3
	s_delay_alu instid0(SALU_CYCLE_1)
	s_add_u32 s40, s16, s40
	s_addc_u32 s41, s33, s41
	s_waitcnt vmcnt(0)
	global_store_b64 v5, v[1:2], s[40:41]
.LBB3_203:                              ;   in Loop: Header=BB3_6 Depth=1
	s_or_b32 exec_lo, exec_lo, s5
	s_mov_b32 s5, 0
	s_mov_b32 s7, -2
	s_waitcnt_vscnt null, 0x0
	s_barrier
	buffer_gl0_inv
	s_branch .LBB3_194
.LBB3_204:                              ;   in Loop: Header=BB3_6 Depth=1
	s_add_i32 s40, s38, s8
	s_delay_alu instid0(SALU_CYCLE_1) | instskip(NEXT) | instid1(SALU_CYCLE_1)
	s_ashr_i32 s41, s40, 31
	s_lshl_b64 s[40:41], s[40:41], 3
	s_delay_alu instid0(SALU_CYCLE_1)
	s_add_u32 s40, s45, s40
	s_addc_u32 s41, s46, s41
	global_load_b64 v[1:2], v5, s[40:41]
	s_and_saveexec_b32 s5, s2
	s_cbranch_execz .LBB3_206
; %bb.205:                              ;   in Loop: Header=BB3_6 Depth=1
	s_mul_i32 s40, s8, s49
	s_delay_alu instid0(SALU_CYCLE_1) | instskip(NEXT) | instid1(SALU_CYCLE_1)
	s_ashr_i32 s41, s40, 31
	s_lshl_b64 s[40:41], s[40:41], 3
	s_delay_alu instid0(SALU_CYCLE_1)
	s_add_u32 s40, s16, s40
	s_addc_u32 s41, s33, s41
	s_waitcnt vmcnt(0)
	global_store_b64 v5, v[1:2], s[40:41]
.LBB3_206:                              ;   in Loop: Header=BB3_6 Depth=1
	s_or_b32 exec_lo, exec_lo, s5
	s_and_saveexec_b32 s5, s4
	s_cbranch_execz .LBB3_209
; %bb.207:                              ;   in Loop: Header=BB3_6 Depth=1
	s_waitcnt vmcnt(0)
	v_div_scale_f64 v[3:4], null, v[1:2], v[1:2], 1.0
	s_mov_b32 s7, 0
	s_delay_alu instid0(VALU_DEP_1) | instskip(SKIP_2) | instid1(VALU_DEP_1)
	v_rcp_f64_e32 v[6:7], v[3:4]
	s_waitcnt_depctr 0xfff
	v_fma_f64 v[8:9], -v[3:4], v[6:7], 1.0
	v_fma_f64 v[6:7], v[6:7], v[8:9], v[6:7]
	s_delay_alu instid0(VALU_DEP_1) | instskip(NEXT) | instid1(VALU_DEP_1)
	v_fma_f64 v[8:9], -v[3:4], v[6:7], 1.0
	v_fma_f64 v[6:7], v[6:7], v[8:9], v[6:7]
	v_div_scale_f64 v[8:9], vcc_lo, 1.0, v[1:2], 1.0
	s_delay_alu instid0(VALU_DEP_1) | instskip(NEXT) | instid1(VALU_DEP_1)
	v_mul_f64 v[10:11], v[8:9], v[6:7]
	v_fma_f64 v[3:4], -v[3:4], v[10:11], v[8:9]
	v_mov_b32_e32 v8, v0
	s_delay_alu instid0(VALU_DEP_2) | instskip(SKIP_1) | instid1(VALU_DEP_1)
	v_div_fmas_f64 v[3:4], v[3:4], v[6:7], v[10:11]
	v_add_nc_u32_e32 v6, s38, v0
	v_ashrrev_i32_e32 v7, 31, v6
	s_delay_alu instid0(VALU_DEP_1) | instskip(NEXT) | instid1(VALU_DEP_4)
	v_lshlrev_b64 v[6:7], 3, v[6:7]
	v_div_fixup_f64 v[1:2], v[3:4], v[1:2], 1.0
	s_delay_alu instid0(VALU_DEP_1) | instskip(NEXT) | instid1(VALU_DEP_1)
	v_mad_u64_u32 v[3:4], null, s8, s17, v[0:1]
	v_ashrrev_i32_e32 v4, 31, v3
	s_delay_alu instid0(VALU_DEP_1) | instskip(NEXT) | instid1(VALU_DEP_1)
	v_lshlrev_b64 v[3:4], 3, v[3:4]
	v_add_co_u32 v3, vcc_lo, s61, v3
	s_delay_alu instid0(VALU_DEP_2)
	v_add_co_ci_u32_e32 v4, vcc_lo, s62, v4, vcc_lo
	v_add_co_u32 v6, vcc_lo, s59, v6
	v_add_co_ci_u32_e32 v7, vcc_lo, s60, v7, vcc_lo
	.p2align	6
.LBB3_208:                              ;   Parent Loop BB3_6 Depth=1
                                        ; =>  This Inner Loop Header: Depth=2
	global_load_b64 v[9:10], v[6:7], off
	v_add_nc_u32_e32 v8, 0x100, v8
	v_add_co_u32 v6, vcc_lo, 0x800, v6
	v_add_co_ci_u32_e32 v7, vcc_lo, 0, v7, vcc_lo
	s_delay_alu instid0(VALU_DEP_3)
	v_cmp_le_i32_e32 vcc_lo, s8, v8
	s_or_b32 s7, vcc_lo, s7
	s_waitcnt vmcnt(0)
	v_mul_f64 v[9:10], v[1:2], v[9:10]
	global_store_b64 v[3:4], v[9:10], off
	v_add_co_u32 v3, s4, 0x800, v3
	s_delay_alu instid0(VALU_DEP_1)
	v_add_co_ci_u32_e64 v4, s4, 0, v4, s4
	s_and_not1_b32 exec_lo, exec_lo, s7
	s_cbranch_execnz .LBB3_208
.LBB3_209:                              ;   in Loop: Header=BB3_6 Depth=1
	s_or_b32 exec_lo, exec_lo, s5
	s_mov_b32 s5, -1
	s_mov_b32 s7, -1
	s_waitcnt vmcnt(0)
	s_waitcnt_vscnt null, 0x0
	s_barrier
	buffer_gl0_inv
	s_branch .LBB3_195
.LBB3_210:                              ;   in Loop: Header=BB3_6 Depth=1
	ds_load_b32 v1, v5 offset:3100
	s_waitcnt lgkmcnt(0)
	v_readfirstlane_b32 s4, v1
	s_delay_alu instid0(VALU_DEP_1) | instskip(SKIP_1) | instid1(SALU_CYCLE_1)
	s_cmp_eq_u32 s4, 0
	s_cselect_b32 s4, -1, 0
	s_and_b32 s5, s2, s4
	s_delay_alu instid0(SALU_CYCLE_1)
	s_and_saveexec_b32 s4, s5
	s_cbranch_execz .LBB3_212
; %bb.211:                              ;   in Loop: Header=BB3_6 Depth=1
	s_add_i32 s5, s8, 1
	s_delay_alu instid0(SALU_CYCLE_1)
	v_mov_b32_e32 v1, s5
	ds_store_b32 v5, v1 offset:3100
.LBB3_212:                              ;   in Loop: Header=BB3_6 Depth=1
	s_or_b32 exec_lo, exec_lo, s4
	s_mov_b32 s7, -1
	s_mov_b32 s5, -1
	s_mov_b32 s6, s8
	s_and_saveexec_b32 s38, s2
	s_cbranch_execz .LBB3_4
.LBB3_213:                              ;   in Loop: Header=BB3_6 Depth=1
	s_lshl_b64 s[40:41], s[8:9], 2
	s_xor_b32 s39, s5, -1
	s_add_u32 s4, s42, s40
	s_addc_u32 s5, s43, s41
	s_and_b32 vcc_lo, exec_lo, s39
	s_mov_b32 s39, -1
	s_cbranch_vccz .LBB3_215
; %bb.214:                              ;   in Loop: Header=BB3_6 Depth=1
	s_not_b32 s39, s6
	s_delay_alu instid0(SALU_CYCLE_1)
	v_dual_mov_b32 v1, s39 :: v_dual_mov_b32 v2, s39
	s_mov_b32 s39, 0
	global_store_b64 v5, v[1:2], s[4:5] offset:-4
.LBB3_215:                              ;   in Loop: Header=BB3_6 Depth=1
	s_and_not1_b32 vcc_lo, exec_lo, s39
	s_cbranch_vccnz .LBB3_4
; %bb.216:                              ;   in Loop: Header=BB3_6 Depth=1
	s_add_i32 s6, s6, 1
	s_delay_alu instid0(SALU_CYCLE_1)
	v_mov_b32_e32 v1, s6
	global_store_b32 v5, v1, s[4:5]
	s_branch .LBB3_4
.LBB3_217:                              ;   in Loop: Header=BB3_6 Depth=1
	s_mov_b32 s7, 0
	s_mov_b32 s40, -2
	s_delay_alu instid0(SALU_CYCLE_1) | instskip(NEXT) | instid1(SALU_CYCLE_1)
	s_add_i32 s39, s40, s8
	s_add_i32 s41, s39, 1
	s_delay_alu instid0(SALU_CYCLE_1)
	s_cmp_eq_u32 s6, s41
	s_cbranch_scc0 .LBB3_177
	s_branch .LBB3_192
.LBB3_218:
	s_add_i32 s0, s66, 1
.LBB3_219:
	s_and_saveexec_b32 s1, s2
	s_cbranch_execz .LBB3_221
; %bb.220:
	v_mov_b32_e32 v1, 0
	s_lshl_b64 s[2:3], s[26:27], 2
	s_delay_alu instid0(SALU_CYCLE_1)
	s_add_u32 s4, s12, s2
	s_addc_u32 s5, s13, s3
	ds_load_b32 v2, v1 offset:3100
	s_add_u32 s2, s10, s2
	s_addc_u32 s3, s11, s3
	s_not_b32 s6, s8
	s_delay_alu instid0(SALU_CYCLE_1) | instskip(NEXT) | instid1(SALU_CYCLE_1)
	s_add_i32 s6, s6, s18
	v_mov_b32_e32 v3, s6
	global_store_b32 v1, v3, s[4:5]
	s_waitcnt lgkmcnt(0)
	global_store_b32 v1, v2, s[2:3]
.LBB3_221:
	s_or_b32 exec_lo, exec_lo, s1
	s_abs_i32 s1, s19
	s_abs_i32 s4, s8
	v_cvt_f32_u32_e32 v1, s1
	s_sub_i32 s3, 0, s1
	s_mov_b32 s5, 0
	s_delay_alu instid0(VALU_DEP_1) | instskip(SKIP_2) | instid1(VALU_DEP_1)
	v_rcp_iflag_f32_e32 v1, v1
	s_waitcnt_depctr 0xfff
	v_mul_f32_e32 v1, 0x4f7ffffe, v1
	v_cvt_u32_f32_e32 v1, v1
	s_delay_alu instid0(VALU_DEP_1) | instskip(NEXT) | instid1(VALU_DEP_1)
	v_readfirstlane_b32 s2, v1
	s_mul_i32 s3, s3, s2
	s_delay_alu instid0(SALU_CYCLE_1) | instskip(NEXT) | instid1(SALU_CYCLE_1)
	s_mul_hi_u32 s3, s2, s3
	s_add_i32 s2, s2, s3
	s_ashr_i32 s3, s8, 31
	s_mul_hi_u32 s2, s4, s2
	s_delay_alu instid0(SALU_CYCLE_1) | instskip(NEXT) | instid1(SALU_CYCLE_1)
	s_mul_i32 s2, s2, s1
	s_sub_i32 s2, s4, s2
	s_delay_alu instid0(SALU_CYCLE_1) | instskip(SKIP_2) | instid1(SALU_CYCLE_1)
	s_sub_i32 s4, s2, s1
	s_cmp_ge_u32 s2, s1
	s_cselect_b32 s2, s4, s2
	s_sub_i32 s4, s2, s1
	s_cmp_ge_u32 s2, s1
	s_cselect_b32 s1, s4, s2
	s_add_i32 s2, s8, 1
	s_xor_b32 s1, s1, s3
	s_delay_alu instid0(SALU_CYCLE_1) | instskip(NEXT) | instid1(SALU_CYCLE_1)
	s_sub_i32 s1, s3, s1
	s_add_i32 s4, s8, s1
	s_delay_alu instid0(SALU_CYCLE_1)
	s_cmp_lt_i32 s4, 0
	s_cbranch_scc1 .LBB3_239
; %bb.222:
	s_mul_i32 s0, s0, s18
	s_not_b32 s3, s8
	s_ashr_i32 s1, s0, 31
	s_mul_i32 s6, s2, s17
	s_lshl_b64 s[0:1], s[0:1], 3
	s_add_i32 s3, s3, s18
	s_ashr_i32 s7, s6, 31
	s_add_u32 s12, s45, s0
	s_addc_u32 s13, s46, s1
	s_cmp_gt_i32 s3, 0
	v_mov_b32_e32 v2, 0
	s_cselect_b32 s26, -1, 0
	s_lshl_b64 s[8:9], s[6:7], 3
	s_delay_alu instid0(SALU_CYCLE_1)
	s_add_u32 s27, s16, s8
	s_addc_u32 s30, s33, s9
	s_add_u32 s0, s28, s0
	s_addc_u32 s1, s29, s1
	s_add_u32 s20, s20, s0
	s_addc_u32 s21, s21, s1
	s_ashr_i32 s1, s18, 31
	s_mov_b32 s0, s18
	s_delay_alu instid0(SALU_CYCLE_1)
	s_lshl_b64 s[6:7], s[0:1], 3
	s_add_u32 s0, s22, s24
	s_addc_u32 s1, s23, s25
	s_add_u32 s0, s0, s8
	s_addc_u32 s1, s1, s9
	;; [unrolled: 2-line block ×3, first 2 shown]
	v_add_co_u32 v11, s0, s0, v17
	s_delay_alu instid0(VALU_DEP_1) | instskip(SKIP_2) | instid1(SALU_CYCLE_1)
	v_add_co_ci_u32_e64 v12, null, s1, 0, s0
	s_ashr_i32 s1, s17, 31
	s_mov_b32 s0, s17
	s_lshl_b64 s[8:9], s[0:1], 3
	s_branch .LBB3_224
.LBB3_223:                              ;   in Loop: Header=BB3_224 Depth=1
	s_or_b32 exec_lo, exec_lo, s0
	s_sub_i32 s4, s4, s19
	s_delay_alu instid0(SALU_CYCLE_1)
	s_cmp_gt_i32 s4, -1
	s_cbranch_scc0 .LBB3_239
.LBB3_224:                              ; =>This Loop Header: Depth=1
                                        ;     Child Loop BB3_227 Depth 2
                                        ;       Child Loop BB3_230 Depth 3
                                        ;         Child Loop BB3_232 Depth 4
                                        ;     Child Loop BB3_236 Depth 2
                                        ;       Child Loop BB3_238 Depth 3
	s_sub_i32 s0, s2, s4
	s_delay_alu instid0(SALU_CYCLE_1) | instskip(NEXT) | instid1(SALU_CYCLE_1)
	s_min_i32 s14, s0, s19
	s_cmp_lt_i32 s14, 1
	s_cbranch_scc1 .LBB3_233
; %bb.225:                              ;   in Loop: Header=BB3_224 Depth=1
	s_lshl_b64 s[0:1], s[4:5], 3
	s_mov_b32 s24, s4
	v_add_co_u32 v3, vcc_lo, v11, s0
	s_add_u32 s10, s20, s0
	v_add_co_ci_u32_e32 v4, vcc_lo, s1, v12, vcc_lo
	s_addc_u32 s11, s21, s1
	s_add_i32 s15, s14, s4
	s_add_u32 s22, s16, s0
	s_addc_u32 s23, s33, s1
	s_branch .LBB3_227
.LBB3_226:                              ;   in Loop: Header=BB3_227 Depth=2
	s_set_inst_prefetch_distance 0x2
	s_or_b32 exec_lo, exec_lo, s28
	s_add_i32 s24, s24, 1
	s_add_u32 s10, s10, 8
	s_addc_u32 s11, s11, 0
	s_cmp_lt_i32 s24, s15
	s_cbranch_scc0 .LBB3_233
.LBB3_227:                              ;   Parent Loop BB3_224 Depth=1
                                        ; =>  This Loop Header: Depth=2
                                        ;       Child Loop BB3_230 Depth 3
                                        ;         Child Loop BB3_232 Depth 4
	s_sub_i32 s25, s24, s4
	s_mov_b32 s28, exec_lo
	v_cmpx_ge_i32_e64 s25, v0
	s_cbranch_execz .LBB3_226
; %bb.228:                              ;   in Loop: Header=BB3_227 Depth=2
	s_mul_i32 s0, s24, s17
	v_dual_mov_b32 v6, v4 :: v_dual_mov_b32 v5, v3
	s_ashr_i32 s1, s0, 31
	v_mov_b32_e32 v1, v0
	s_lshl_b64 s[0:1], s[0:1], 3
	s_mov_b32 s34, 0
	s_add_u32 s29, s22, s0
	s_addc_u32 s31, s23, s1
	s_set_inst_prefetch_distance 0x1
	s_branch .LBB3_230
	.p2align	6
.LBB3_229:                              ;   in Loop: Header=BB3_230 Depth=3
	v_lshlrev_b64 v[9:10], 3, v[1:2]
	v_add_nc_u32_e32 v1, 0x100, v1
	v_add_co_u32 v5, s0, 0x800, v5
	s_delay_alu instid0(VALU_DEP_1) | instskip(NEXT) | instid1(VALU_DEP_4)
	v_add_co_ci_u32_e64 v6, s0, 0, v6, s0
	v_add_co_u32 v9, vcc_lo, s29, v9
	v_add_co_ci_u32_e32 v10, vcc_lo, s31, v10, vcc_lo
	v_cmp_lt_i32_e32 vcc_lo, s25, v1
	global_load_b64 v[13:14], v[9:10], off
	s_or_b32 s34, vcc_lo, s34
	s_waitcnt vmcnt(0)
	v_add_f64 v[7:8], v[13:14], -v[7:8]
	global_store_b64 v[9:10], v[7:8], off
	s_and_not1_b32 exec_lo, exec_lo, s34
	s_cbranch_execz .LBB3_226
.LBB3_230:                              ;   Parent Loop BB3_224 Depth=1
                                        ;     Parent Loop BB3_227 Depth=2
                                        ; =>    This Loop Header: Depth=3
                                        ;         Child Loop BB3_232 Depth 4
	v_mov_b32_e32 v7, 0
	v_mov_b32_e32 v8, 0
	s_and_not1_b32 vcc_lo, exec_lo, s26
	s_cbranch_vccnz .LBB3_229
; %bb.231:                              ;   in Loop: Header=BB3_230 Depth=3
	v_dual_mov_b32 v10, v6 :: v_dual_mov_b32 v9, v5
	s_mov_b64 s[0:1], s[10:11]
	s_mov_b32 s35, s3
.LBB3_232:                              ;   Parent Loop BB3_224 Depth=1
                                        ;     Parent Loop BB3_227 Depth=2
                                        ;       Parent Loop BB3_230 Depth=3
                                        ; =>      This Inner Loop Header: Depth=4
	global_load_b64 v[13:14], v[9:10], off
	global_load_b64 v[17:18], v2, s[0:1]
	v_add_co_u32 v9, vcc_lo, v9, s8
	s_add_i32 s35, s35, -1
	v_add_co_ci_u32_e32 v10, vcc_lo, s9, v10, vcc_lo
	s_add_u32 s0, s0, s6
	s_addc_u32 s1, s1, s7
	s_cmp_eq_u32 s35, 0
	s_waitcnt vmcnt(0)
	v_fma_f64 v[7:8], v[13:14], v[17:18], v[7:8]
	s_cbranch_scc0 .LBB3_232
	s_branch .LBB3_229
.LBB3_233:                              ;   in Loop: Header=BB3_224 Depth=1
	s_mul_i32 s14, s14, s4
	s_mov_b32 s0, exec_lo
	v_cmpx_gt_i32_e64 s14, v0
	s_cbranch_execz .LBB3_223
; %bb.234:                              ;   in Loop: Header=BB3_224 Depth=1
	s_lshl_b64 s[10:11], s[4:5], 3
	s_mul_i32 s22, s4, s17
	s_add_u32 s1, s12, s10
	s_addc_u32 s10, s13, s11
	s_ashr_i32 s23, s22, 31
	s_mov_b32 s24, 0
	s_lshl_b64 s[22:23], s[22:23], 3
	v_mov_b32_e32 v10, v0
	s_add_u32 s11, s16, s22
	s_addc_u32 s15, s33, s23
	s_abs_i32 s22, s4
	s_delay_alu instid0(SALU_CYCLE_1) | instskip(SKIP_1) | instid1(VALU_DEP_1)
	v_cvt_f32_u32_e32 v1, s22
	s_sub_i32 s23, 0, s22
	v_rcp_iflag_f32_e32 v1, v1
	s_waitcnt_depctr 0xfff
	v_mul_f32_e32 v1, 0x4f7ffffe, v1
	s_delay_alu instid0(VALU_DEP_1) | instskip(NEXT) | instid1(VALU_DEP_1)
	v_cvt_u32_f32_e32 v1, v1
	v_mul_lo_u32 v3, s23, v1
	s_ashr_i32 s23, s4, 31
	s_delay_alu instid0(VALU_DEP_1) | instskip(NEXT) | instid1(VALU_DEP_1)
	v_mul_hi_u32 v3, v1, v3
	v_add_nc_u32_e32 v9, v1, v3
	s_branch .LBB3_236
.LBB3_235:                              ;   in Loop: Header=BB3_236 Depth=2
	s_delay_alu instid0(VALU_DEP_1) | instskip(SKIP_1) | instid1(VALU_DEP_2)
	v_mad_u64_u32 v[5:6], null, v13, s17, v[1:2]
	v_add_nc_u32_e32 v10, 0x100, v10
	v_ashrrev_i32_e32 v6, 31, v5
	s_delay_alu instid0(VALU_DEP_1) | instskip(NEXT) | instid1(VALU_DEP_1)
	v_lshlrev_b64 v[5:6], 3, v[5:6]
	v_add_co_u32 v5, vcc_lo, s11, v5
	s_delay_alu instid0(VALU_DEP_2)
	v_add_co_ci_u32_e32 v6, vcc_lo, s15, v6, vcc_lo
	v_cmp_le_i32_e32 vcc_lo, s14, v10
	global_load_b64 v[7:8], v[5:6], off
	s_or_b32 s24, vcc_lo, s24
	s_waitcnt vmcnt(0)
	v_add_f64 v[3:4], v[7:8], -v[3:4]
	global_store_b64 v[5:6], v[3:4], off
	s_and_not1_b32 exec_lo, exec_lo, s24
	s_cbranch_execz .LBB3_223
.LBB3_236:                              ;   Parent Loop BB3_224 Depth=1
                                        ; =>  This Loop Header: Depth=2
                                        ;       Child Loop BB3_238 Depth 3
	s_delay_alu instid0(VALU_DEP_1) | instskip(NEXT) | instid1(VALU_DEP_1)
	v_mul_hi_u32 v1, v10, v9
	v_mul_lo_u32 v3, v1, s22
	v_add_nc_u32_e32 v4, 1, v1
	s_delay_alu instid0(VALU_DEP_2) | instskip(NEXT) | instid1(VALU_DEP_1)
	v_sub_nc_u32_e32 v3, v10, v3
	v_subrev_nc_u32_e32 v5, s22, v3
	v_cmp_le_u32_e32 vcc_lo, s22, v3
	s_delay_alu instid0(VALU_DEP_4) | instskip(NEXT) | instid1(VALU_DEP_3)
	v_cndmask_b32_e32 v1, v1, v4, vcc_lo
	v_cndmask_b32_e32 v3, v3, v5, vcc_lo
	s_delay_alu instid0(VALU_DEP_2) | instskip(NEXT) | instid1(VALU_DEP_2)
	v_add_nc_u32_e32 v4, 1, v1
	v_cmp_le_u32_e32 vcc_lo, s22, v3
	s_delay_alu instid0(VALU_DEP_2) | instskip(SKIP_3) | instid1(VALU_DEP_3)
	v_cndmask_b32_e32 v1, v1, v4, vcc_lo
	v_mov_b32_e32 v3, 0
	v_mov_b32_e32 v4, 0
	s_and_not1_b32 vcc_lo, exec_lo, s26
	v_xor_b32_e32 v1, s23, v1
	s_delay_alu instid0(VALU_DEP_1) | instskip(NEXT) | instid1(VALU_DEP_1)
	v_subrev_nc_u32_e32 v13, s23, v1
	v_mul_lo_u32 v1, v13, s4
	s_delay_alu instid0(VALU_DEP_1)
	v_sub_nc_u32_e32 v1, v10, v1
	s_cbranch_vccnz .LBB3_235
; %bb.237:                              ;   in Loop: Header=BB3_236 Depth=2
	s_delay_alu instid0(VALU_DEP_1)
	v_mov_b32_e32 v5, v1
	v_mov_b32_e32 v7, v13
	s_mov_b32 s25, s3
	.p2align	6
.LBB3_238:                              ;   Parent Loop BB3_224 Depth=1
                                        ;     Parent Loop BB3_236 Depth=2
                                        ; =>    This Inner Loop Header: Depth=3
	s_delay_alu instid0(VALU_DEP_2) | instskip(NEXT) | instid1(VALU_DEP_2)
	v_ashrrev_i32_e32 v6, 31, v5
	v_ashrrev_i32_e32 v8, 31, v7
	s_add_i32 s25, s25, -1
	s_delay_alu instid0(SALU_CYCLE_1) | instskip(NEXT) | instid1(VALU_DEP_2)
	s_cmp_eq_u32 s25, 0
	v_lshlrev_b64 v[14:15], 3, v[5:6]
	s_delay_alu instid0(VALU_DEP_2) | instskip(SKIP_2) | instid1(VALU_DEP_4)
	v_lshlrev_b64 v[17:18], 3, v[7:8]
	v_add_nc_u32_e32 v7, s18, v7
	v_add_nc_u32_e32 v5, s17, v5
	v_add_co_u32 v14, vcc_lo, s27, v14
	v_add_co_ci_u32_e32 v15, vcc_lo, s30, v15, vcc_lo
	v_add_co_u32 v17, vcc_lo, s1, v17
	v_add_co_ci_u32_e32 v18, vcc_lo, s10, v18, vcc_lo
	global_load_b64 v[14:15], v[14:15], off
	global_load_b64 v[17:18], v[17:18], off
	s_waitcnt vmcnt(0)
	v_fma_f64 v[3:4], v[14:15], v[17:18], v[3:4]
	s_cbranch_scc0 .LBB3_238
	s_branch .LBB3_235
.LBB3_239:
	s_cmp_ge_i32 s2, s44
	s_waitcnt lgkmcnt(0)
	s_waitcnt_vscnt null, 0x0
	s_barrier
	buffer_gl0_inv
	s_cbranch_scc1 .LBB3_247
; %bb.240:
	v_mov_b32_e32 v1, 0
	s_lshl_b32 s0, s17, 8
	s_branch .LBB3_243
.LBB3_241:                              ;   in Loop: Header=BB3_243 Depth=1
	s_or_b32 exec_lo, exec_lo, s5
	s_waitcnt_vscnt null, 0x0
	s_barrier
	buffer_gl0_inv
.LBB3_242:                              ;   in Loop: Header=BB3_243 Depth=1
	s_cmp_lt_i32 s1, s44
	s_mov_b32 s2, s1
	s_cbranch_scc0 .LBB3_247
.LBB3_243:                              ; =>This Loop Header: Depth=1
                                        ;     Child Loop BB3_246 Depth 2
	s_ashr_i32 s3, s2, 31
	s_delay_alu instid0(SALU_CYCLE_1) | instskip(NEXT) | instid1(SALU_CYCLE_1)
	s_lshl_b64 s[4:5], s[2:3], 2
	s_add_u32 s4, s42, s4
	s_addc_u32 s5, s43, s5
	global_load_b32 v2, v1, s[4:5]
	s_waitcnt vmcnt(0)
	v_readfirstlane_b32 s1, v2
	s_delay_alu instid0(VALU_DEP_1) | instskip(SKIP_4) | instid1(SALU_CYCLE_1)
	s_not_b32 s3, s1
	s_add_i32 s4, s1, -1
	s_cmp_lt_i32 s1, 0
	s_cselect_b32 s3, s3, s4
	s_lshr_b32 s6, s1, 31
	s_add_i32 s1, s2, s6
	s_delay_alu instid0(SALU_CYCLE_1) | instskip(SKIP_4) | instid1(SALU_CYCLE_1)
	s_add_i32 s1, s1, 1
	s_cmp_eq_u32 s3, s2
	s_cselect_b32 s4, -1, 0
	s_cmp_le_i32 s18, s1
	s_cselect_b32 s5, -1, 0
	s_or_b32 s4, s4, s5
	s_delay_alu instid0(SALU_CYCLE_1)
	s_and_b32 vcc_lo, exec_lo, s4
	s_cbranch_vccnz .LBB3_242
; %bb.244:                              ;   in Loop: Header=BB3_243 Depth=1
	s_sub_i32 s4, s18, s1
	s_mov_b32 s5, exec_lo
	v_cmpx_gt_i32_e64 s4, v0
	s_cbranch_execz .LBB3_241
; %bb.245:                              ;   in Loop: Header=BB3_243 Depth=1
	v_add3_u32 v2, s6, s2, v16
	v_mov_b32_e32 v3, v0
	s_mov_b32 s6, 0
	s_delay_alu instid0(VALU_DEP_2)
	v_mul_lo_u32 v2, s17, v2
	.p2align	6
.LBB3_246:                              ;   Parent Loop BB3_243 Depth=1
                                        ; =>  This Inner Loop Header: Depth=2
	s_delay_alu instid0(VALU_DEP_1) | instskip(SKIP_3) | instid1(VALU_DEP_4)
	v_add_nc_u32_e32 v4, s2, v2
	v_add_nc_u32_e32 v6, s3, v2
	;; [unrolled: 1-line block ×4, first 2 shown]
	v_ashrrev_i32_e32 v5, 31, v4
	s_delay_alu instid0(VALU_DEP_4) | instskip(NEXT) | instid1(VALU_DEP_2)
	v_ashrrev_i32_e32 v7, 31, v6
	v_lshlrev_b64 v[4:5], 3, v[4:5]
	s_delay_alu instid0(VALU_DEP_2) | instskip(NEXT) | instid1(VALU_DEP_2)
	v_lshlrev_b64 v[6:7], 3, v[6:7]
	v_add_co_u32 v4, vcc_lo, s16, v4
	s_delay_alu instid0(VALU_DEP_3) | instskip(NEXT) | instid1(VALU_DEP_3)
	v_add_co_ci_u32_e32 v5, vcc_lo, s33, v5, vcc_lo
	v_add_co_u32 v6, vcc_lo, s16, v6
	s_delay_alu instid0(VALU_DEP_4)
	v_add_co_ci_u32_e32 v7, vcc_lo, s33, v7, vcc_lo
	v_cmp_le_i32_e32 vcc_lo, s4, v3
	s_clause 0x1
	global_load_b64 v[8:9], v[4:5], off
	global_load_b64 v[10:11], v[6:7], off
	s_waitcnt vmcnt(1)
	global_store_b64 v[6:7], v[8:9], off
	s_waitcnt vmcnt(0)
	global_store_b64 v[4:5], v[10:11], off
	s_or_b32 s6, vcc_lo, s6
	s_delay_alu instid0(SALU_CYCLE_1)
	s_and_not1_b32 exec_lo, exec_lo, s6
	s_cbranch_execnz .LBB3_246
	s_branch .LBB3_241
.LBB3_247:
	s_endpgm
	.section	.rodata,"a",@progbits
	.p2align	6, 0x0
	.amdhsa_kernel _ZN9rocsolver6v33100L18lasyf_kernel_upperIdPdEEviiPiT0_iilS3_lS3_PT_
		.amdhsa_group_segment_fixed_size 3104
		.amdhsa_private_segment_fixed_size 0
		.amdhsa_kernarg_size 72
		.amdhsa_user_sgpr_count 14
		.amdhsa_user_sgpr_dispatch_ptr 0
		.amdhsa_user_sgpr_queue_ptr 0
		.amdhsa_user_sgpr_kernarg_segment_ptr 1
		.amdhsa_user_sgpr_dispatch_id 0
		.amdhsa_user_sgpr_private_segment_size 0
		.amdhsa_wavefront_size32 1
		.amdhsa_uses_dynamic_stack 0
		.amdhsa_enable_private_segment 0
		.amdhsa_system_sgpr_workgroup_id_x 1
		.amdhsa_system_sgpr_workgroup_id_y 1
		.amdhsa_system_sgpr_workgroup_id_z 0
		.amdhsa_system_sgpr_workgroup_info 0
		.amdhsa_system_vgpr_workitem_id 0
		.amdhsa_next_free_vgpr 34
		.amdhsa_next_free_sgpr 74
		.amdhsa_reserve_vcc 1
		.amdhsa_float_round_mode_32 0
		.amdhsa_float_round_mode_16_64 0
		.amdhsa_float_denorm_mode_32 3
		.amdhsa_float_denorm_mode_16_64 3
		.amdhsa_dx10_clamp 1
		.amdhsa_ieee_mode 1
		.amdhsa_fp16_overflow 0
		.amdhsa_workgroup_processor_mode 1
		.amdhsa_memory_ordered 1
		.amdhsa_forward_progress 0
		.amdhsa_shared_vgpr_count 0
		.amdhsa_exception_fp_ieee_invalid_op 0
		.amdhsa_exception_fp_denorm_src 0
		.amdhsa_exception_fp_ieee_div_zero 0
		.amdhsa_exception_fp_ieee_overflow 0
		.amdhsa_exception_fp_ieee_underflow 0
		.amdhsa_exception_fp_ieee_inexact 0
		.amdhsa_exception_int_div_zero 0
	.end_amdhsa_kernel
	.section	.text._ZN9rocsolver6v33100L18lasyf_kernel_upperIdPdEEviiPiT0_iilS3_lS3_PT_,"axG",@progbits,_ZN9rocsolver6v33100L18lasyf_kernel_upperIdPdEEviiPiT0_iilS3_lS3_PT_,comdat
.Lfunc_end3:
	.size	_ZN9rocsolver6v33100L18lasyf_kernel_upperIdPdEEviiPiT0_iilS3_lS3_PT_, .Lfunc_end3-_ZN9rocsolver6v33100L18lasyf_kernel_upperIdPdEEviiPiT0_iilS3_lS3_PT_
                                        ; -- End function
	.section	.AMDGPU.csdata,"",@progbits
; Kernel info:
; codeLenInByte = 11276
; NumSgprs: 76
; NumVgprs: 34
; ScratchSize: 0
; MemoryBound: 0
; FloatMode: 240
; IeeeMode: 1
; LDSByteSize: 3104 bytes/workgroup (compile time only)
; SGPRBlocks: 9
; VGPRBlocks: 4
; NumSGPRsForWavesPerEU: 76
; NumVGPRsForWavesPerEU: 34
; Occupancy: 16
; WaveLimiterHint : 1
; COMPUTE_PGM_RSRC2:SCRATCH_EN: 0
; COMPUTE_PGM_RSRC2:USER_SGPR: 14
; COMPUTE_PGM_RSRC2:TRAP_HANDLER: 0
; COMPUTE_PGM_RSRC2:TGID_X_EN: 1
; COMPUTE_PGM_RSRC2:TGID_Y_EN: 1
; COMPUTE_PGM_RSRC2:TGID_Z_EN: 0
; COMPUTE_PGM_RSRC2:TIDIG_COMP_CNT: 0
	.section	.text._ZN9rocsolver6v33100L18lasyf_kernel_lowerIdPdEEviiPiT0_iilS3_lS3_PT_,"axG",@progbits,_ZN9rocsolver6v33100L18lasyf_kernel_lowerIdPdEEviiPiT0_iilS3_lS3_PT_,comdat
	.globl	_ZN9rocsolver6v33100L18lasyf_kernel_lowerIdPdEEviiPiT0_iilS3_lS3_PT_ ; -- Begin function _ZN9rocsolver6v33100L18lasyf_kernel_lowerIdPdEEviiPiT0_iilS3_lS3_PT_
	.p2align	8
	.type	_ZN9rocsolver6v33100L18lasyf_kernel_lowerIdPdEEviiPiT0_iilS3_lS3_PT_,@function
_ZN9rocsolver6v33100L18lasyf_kernel_lowerIdPdEEviiPiT0_iilS3_lS3_PT_: ; @_ZN9rocsolver6v33100L18lasyf_kernel_lowerIdPdEEviiPiT0_iilS3_lS3_PT_
; %bb.0:
	v_cmp_eq_u32_e64 s2, 0, v0
	s_mov_b32 s22, s15
	s_delay_alu instid0(VALU_DEP_1)
	s_and_saveexec_b32 s3, s2
	s_cbranch_execz .LBB4_2
; %bb.1:
	v_mov_b32_e32 v1, 0
	ds_store_b32 v1, v1 offset:3100
.LBB4_2:
	s_or_b32 exec_lo, exec_lo, s3
	s_clause 0x4
	s_load_b64 s[16:17], s[0:1], 0x18
	s_load_b256 s[4:11], s[0:1], 0x20
	s_load_b64 s[18:19], s[0:1], 0x0
	s_load_b128 s[12:15], s[0:1], 0x8
	s_load_b64 s[24:25], s[0:1], 0x40
	s_ashr_i32 s23, s22, 31
	v_lshlrev_b32_e32 v28, 3, v0
	s_waitcnt lgkmcnt(0)
	s_ashr_i32 s1, s16, 31
	s_mul_i32 s3, s22, s5
	s_mul_hi_u32 s5, s22, s4
	s_mov_b32 s0, s16
	s_mul_i32 s16, s23, s4
	s_add_i32 s3, s5, s3
	s_mul_i32 s4, s22, s4
	s_add_i32 s5, s3, s16
	s_mul_i32 s3, s22, s18
	s_lshl_b64 s[26:27], s[4:5], 3
	s_mul_i32 s4, s22, s9
	s_add_u32 s5, s14, s26
	s_addc_u32 s9, s15, s27
	s_lshl_b64 s[28:29], s[0:1], 3
	s_mul_i32 s0, s3, s19
	s_add_u32 s16, s5, s28
	s_addc_u32 s33, s9, s29
	s_ashr_i32 s1, s0, 31
	s_mul_hi_u32 s3, s22, s8
	s_lshl_b64 s[30:31], s[0:1], 3
	s_mul_i32 s1, s23, s8
	s_add_u32 s20, s24, s30
	s_addc_u32 s21, s25, s31
	s_add_i32 s3, s3, s4
	s_mul_i32 s0, s22, s8
	s_add_i32 s1, s3, s1
	v_mul_lo_u32 v27, v0, s17
	s_lshl_b64 s[0:1], s[0:1], 2
	s_delay_alu instid0(SALU_CYCLE_1)
	s_add_u32 s42, s6, s0
	s_addc_u32 s43, s7, s1
	s_cmp_lt_i32 s18, 1
	s_cbranch_scc1 .LBB4_248
; %bb.3:
	s_add_i32 s44, s19, -1
	s_cmp_eq_u32 s19, s18
	v_mul_lo_u32 v33, v0, s18
	s_cselect_b32 s45, -1, 0
	s_add_i32 s46, s18, -1
	s_add_i32 s47, s17, 1
	s_add_i32 s48, s18, -2
	s_add_i32 s49, s18, 1
	s_add_u32 s50, s16, -8
	s_addc_u32 s51, s33, -1
	s_add_u32 s52, s24, s30
	s_addc_u32 s53, s25, s31
	s_add_u32 s4, s26, s28
	s_addc_u32 s5, s27, s29
	s_add_u32 s54, s14, s4
	v_add_co_u32 v34, s6, s52, v28
	v_dual_mov_b32 v5, 0 :: v_dual_add_nc_u32 v30, 2, v0
	s_addc_u32 s55, s15, s5
	v_add_co_u32 v31, s4, s54, v28
	v_add_co_ci_u32_e64 v35, null, s53, 0, s6
	v_add_co_ci_u32_e64 v32, null, s55, 0, s4
	s_ashr_i32 s5, s17, 31
	s_mov_b32 s4, s17
	v_mul_lo_u32 v38, v0, s17
	v_add_co_u32 v36, vcc_lo, v34, 8
	s_lshl_b64 s[36:37], s[4:5], 3
	s_lshl_b32 s4, s18, 8
	v_lshl_or_b32 v29, v0, 2, 0x800
	v_cmp_gt_u32_e64 s0, 0x80, v0
	v_cmp_gt_u32_e64 s1, 64, v0
	;; [unrolled: 1-line block ×3, first 2 shown]
	v_add_co_ci_u32_e32 v37, vcc_lo, 0, v35, vcc_lo
	v_ashrrev_i32_e32 v39, 31, v33
	v_add_nc_u32_e32 v40, s17, v30
	v_mov_b32_e32 v8, 0
	s_mov_b32 s9, 0
	s_mov_b32 s8, s18
	s_ashr_i32 s5, s4, 31
	s_mov_b32 s38, 0x66afed07
	s_lshl_b64 s[34:35], s[8:9], 3
	s_mov_b32 s39, 0x3fe47e0f
	s_lshl_b32 s8, s17, 8
	s_lshl_b64 s[40:41], s[4:5], 3
                                        ; implicit-def: $sgpr56
	s_branch .LBB4_6
.LBB4_4:                                ;   in Loop: Header=BB4_6 Depth=1
	s_or_b32 exec_lo, exec_lo, s4
	v_add_nc_u32_e32 v5, v1, v5
	s_and_not1_b32 s4, s56, exec_lo
	s_delay_alu instid0(VALU_DEP_1) | instskip(SKIP_1) | instid1(SALU_CYCLE_1)
	v_cmp_le_i32_e32 vcc_lo, s18, v5
	s_and_b32 s5, vcc_lo, exec_lo
	s_or_b32 s56, s4, s5
.LBB4_5:                                ;   in Loop: Header=BB4_6 Depth=1
	s_or_b32 exec_lo, exec_lo, s57
	s_delay_alu instid0(SALU_CYCLE_1) | instskip(NEXT) | instid1(SALU_CYCLE_1)
	s_and_b32 s4, exec_lo, s56
	s_or_b32 s9, s4, s9
	s_delay_alu instid0(SALU_CYCLE_1)
	s_and_not1_b32 exec_lo, exec_lo, s9
	s_cbranch_execz .LBB4_216
.LBB4_6:                                ; =>This Loop Header: Depth=1
                                        ;     Child Loop BB4_11 Depth 2
                                        ;     Child Loop BB4_16 Depth 2
                                        ;       Child Loop BB4_18 Depth 3
                                        ;     Child Loop BB4_22 Depth 2
                                        ;     Child Loop BB4_66 Depth 2
	;; [unrolled: 1-line block ×4, first 2 shown]
                                        ;       Child Loop BB4_78 Depth 3
                                        ;     Child Loop BB4_83 Depth 2
                                        ;     Child Loop BB4_126 Depth 2
	;; [unrolled: 1-line block ×9, first 2 shown]
	v_cmp_gt_i32_e32 vcc_lo, s44, v5
	s_or_b32 s56, s56, exec_lo
	s_or_b32 s4, s45, vcc_lo
	s_delay_alu instid0(SALU_CYCLE_1)
	s_and_saveexec_b32 s57, s4
	s_cbranch_execz .LBB4_5
; %bb.7:                                ;   in Loop: Header=BB4_6 Depth=1
	v_sub_nc_u32_e32 v24, s18, v5
	v_mul_lo_u32 v9, v5, s18
	s_mov_b32 s4, exec_lo
	s_delay_alu instid0(VALU_DEP_2)
	v_cmp_gt_i32_e64 s5, v24, v0
	v_cmpx_le_i32_e64 v24, v0
	s_xor_b32 s4, exec_lo, s4
; %bb.8:                                ;   in Loop: Header=BB4_6 Depth=1
	v_mul_lo_u32 v9, v5, s18
; %bb.9:                                ;   in Loop: Header=BB4_6 Depth=1
	s_and_not1_saveexec_b32 s6, s4
	s_cbranch_execz .LBB4_13
; %bb.10:                               ;   in Loop: Header=BB4_6 Depth=1
	v_mad_u64_u32 v[1:2], null, s47, v5, v[0:1]
	s_mov_b32 s7, 0
	s_delay_alu instid0(VALU_DEP_1) | instskip(SKIP_2) | instid1(VALU_DEP_1)
	v_mad_u64_u32 v[3:4], null, s49, v5, v[0:1]
	v_mov_b32_e32 v4, v8
	v_ashrrev_i32_e32 v2, 31, v1
	v_lshlrev_b64 v[6:7], 3, v[1:2]
	s_delay_alu instid0(VALU_DEP_3) | instskip(NEXT) | instid1(VALU_DEP_1)
	v_lshlrev_b64 v[3:4], 3, v[3:4]
	v_add_co_u32 v1, vcc_lo, s52, v3
	s_delay_alu instid0(VALU_DEP_2) | instskip(NEXT) | instid1(VALU_DEP_4)
	v_add_co_ci_u32_e32 v2, vcc_lo, s53, v4, vcc_lo
	v_add_co_u32 v3, vcc_lo, s54, v6
	v_add_co_ci_u32_e32 v4, vcc_lo, s55, v7, vcc_lo
	v_mov_b32_e32 v6, v0
	.p2align	6
.LBB4_11:                               ;   Parent Loop BB4_6 Depth=1
                                        ; =>  This Inner Loop Header: Depth=2
	global_load_b64 v[10:11], v[3:4], off
	v_add_nc_u32_e32 v6, 0x100, v6
	v_add_co_u32 v3, vcc_lo, 0x800, v3
	v_add_co_ci_u32_e32 v4, vcc_lo, 0, v4, vcc_lo
	s_delay_alu instid0(VALU_DEP_3) | instskip(SKIP_4) | instid1(VALU_DEP_1)
	v_cmp_ge_i32_e32 vcc_lo, v6, v24
	s_or_b32 s7, vcc_lo, s7
	s_waitcnt vmcnt(0)
	global_store_b64 v[1:2], v[10:11], off
	v_add_co_u32 v1, s4, 0x800, v1
	v_add_co_ci_u32_e64 v2, s4, 0, v2, s4
	s_and_not1_b32 exec_lo, exec_lo, s7
	s_cbranch_execnz .LBB4_11
; %bb.12:                               ;   in Loop: Header=BB4_6 Depth=1
	s_or_b32 exec_lo, exec_lo, s7
.LBB4_13:                               ;   in Loop: Header=BB4_6 Depth=1
	s_delay_alu instid0(SALU_CYCLE_1) | instskip(SKIP_1) | instid1(VALU_DEP_2)
	s_or_b32 exec_lo, exec_lo, s6
	v_mov_b32_e32 v6, v8
	v_ashrrev_i32_e32 v10, 31, v9
	s_waitcnt_vscnt null, 0x0
	s_waitcnt lgkmcnt(0)
	s_barrier
	buffer_gl0_inv
	v_lshlrev_b64 v[13:14], 3, v[5:6]
	v_lshlrev_b64 v[3:4], 3, v[9:10]
	s_delay_alu instid0(VALU_DEP_2) | instskip(NEXT) | instid1(VALU_DEP_3)
	v_add_co_u32 v15, vcc_lo, s20, v13
	v_add_co_ci_u32_e32 v16, vcc_lo, s21, v14, vcc_lo
	s_delay_alu instid0(VALU_DEP_2) | instskip(NEXT) | instid1(VALU_DEP_2)
	v_add_co_u32 v11, vcc_lo, v15, v3
	v_add_co_ci_u32_e32 v12, vcc_lo, v16, v4, vcc_lo
	s_and_saveexec_b32 s7, s5
	s_cbranch_execz .LBB4_20
; %bb.14:                               ;   in Loop: Header=BB4_6 Depth=1
	v_add_co_u32 v1, s4, v31, v13
	v_cmp_ne_u32_e32 vcc_lo, 0, v5
	v_add_co_ci_u32_e64 v2, s4, v32, v14, s4
	v_mov_b32_e32 v7, v0
	s_mov_b32 s58, 0
	s_branch .LBB4_16
.LBB4_15:                               ;   in Loop: Header=BB4_16 Depth=2
	s_or_b32 exec_lo, exec_lo, s59
	v_lshlrev_b64 v[19:20], 3, v[7:8]
	v_add_nc_u32_e32 v7, 0x100, v7
	v_add_co_u32 v1, s6, 0x800, v1
	s_delay_alu instid0(VALU_DEP_1) | instskip(NEXT) | instid1(VALU_DEP_4)
	v_add_co_ci_u32_e64 v2, s6, 0, v2, s6
	v_add_co_u32 v19, s4, v11, v19
	s_delay_alu instid0(VALU_DEP_1)
	v_add_co_ci_u32_e64 v20, s4, v12, v20, s4
	v_cmp_ge_i32_e64 s4, v7, v24
	global_load_b64 v[21:22], v[19:20], off
	s_or_b32 s58, s4, s58
	s_waitcnt vmcnt(0)
	v_add_f64 v[17:18], v[21:22], -v[17:18]
	global_store_b64 v[19:20], v[17:18], off
	s_and_not1_b32 exec_lo, exec_lo, s58
	s_cbranch_execz .LBB4_20
.LBB4_16:                               ;   Parent Loop BB4_6 Depth=1
                                        ; =>  This Loop Header: Depth=2
                                        ;       Child Loop BB4_18 Depth 3
	v_mov_b32_e32 v17, 0
	v_mov_b32_e32 v18, 0
	s_and_saveexec_b32 s59, vcc_lo
	s_cbranch_execz .LBB4_15
; %bb.17:                               ;   in Loop: Header=BB4_16 Depth=2
	v_dual_mov_b32 v17, 0 :: v_dual_mov_b32 v20, v2
	v_dual_mov_b32 v18, 0 :: v_dual_mov_b32 v19, v1
	;; [unrolled: 1-line block ×3, first 2 shown]
	v_mov_b32_e32 v10, v5
	s_mov_b32 s60, 0
	.p2align	6
.LBB4_18:                               ;   Parent Loop BB4_6 Depth=1
                                        ;     Parent Loop BB4_16 Depth=2
                                        ; =>    This Inner Loop Header: Depth=3
	global_load_b64 v[25:26], v[19:20], off
	global_load_b64 v[41:42], v[21:22], off
	v_add_nc_u32_e32 v10, -1, v10
	v_add_co_u32 v21, s4, v21, s34
	s_delay_alu instid0(VALU_DEP_1) | instskip(NEXT) | instid1(VALU_DEP_3)
	v_add_co_ci_u32_e64 v22, s4, s35, v22, s4
	v_cmp_eq_u32_e64 s4, 0, v10
	v_add_co_u32 v19, s6, v19, s36
	s_delay_alu instid0(VALU_DEP_1) | instskip(NEXT) | instid1(VALU_DEP_3)
	v_add_co_ci_u32_e64 v20, s6, s37, v20, s6
	s_or_b32 s60, s4, s60
	s_waitcnt vmcnt(0)
	v_fma_f64 v[17:18], v[25:26], v[41:42], v[17:18]
	s_and_not1_b32 exec_lo, exec_lo, s60
	s_cbranch_execnz .LBB4_18
; %bb.19:                               ;   in Loop: Header=BB4_16 Depth=2
	s_or_b32 exec_lo, exec_lo, s60
	s_branch .LBB4_15
.LBB4_20:                               ;   in Loop: Header=BB4_6 Depth=1
	s_or_b32 exec_lo, exec_lo, s7
	v_add_nc_u32_e32 v23, -1, v24
	v_mov_b32_e32 v1, 0
	v_mov_b32_e32 v2, 0
	v_bfrev_b32_e32 v7, -2
	s_waitcnt_vscnt null, 0x0
	v_cmp_gt_i32_e64 s4, v23, v0
	s_barrier
	buffer_gl0_inv
	s_and_saveexec_b32 s7, s4
	s_cbranch_execz .LBB4_24
; %bb.21:                               ;   in Loop: Header=BB4_6 Depth=1
	v_add_co_u32 v1, vcc_lo, v3, v13
	v_add_co_ci_u32_e32 v2, vcc_lo, v4, v14, vcc_lo
	v_bfrev_b32_e32 v7, -2
	s_delay_alu instid0(VALU_DEP_3) | instskip(NEXT) | instid1(VALU_DEP_3)
	v_add_co_u32 v3, vcc_lo, v36, v1
	v_add_co_ci_u32_e32 v4, vcc_lo, v37, v2, vcc_lo
	v_dual_mov_b32 v1, 0 :: v_dual_mov_b32 v10, v0
	v_mov_b32_e32 v2, 0
	s_mov_b32 s58, 0
	.p2align	6
.LBB4_22:                               ;   Parent Loop BB4_6 Depth=1
                                        ; =>  This Inner Loop Header: Depth=2
	global_load_b64 v[17:18], v[3:4], off
	v_cmp_eq_u32_e32 vcc_lo, 0x7fffffff, v7
	v_add_nc_u32_e32 v19, 1, v10
	v_add_co_u32 v3, s6, 0x800, v3
	s_delay_alu instid0(VALU_DEP_1) | instskip(SKIP_2) | instid1(VALU_DEP_1)
	v_add_co_ci_u32_e64 v4, s6, 0, v4, s6
	s_waitcnt vmcnt(0)
	v_cmp_lt_f64_e64 s59, v[1:2], |v[17:18]|
	s_or_b32 vcc_lo, s59, vcc_lo
	v_dual_cndmask_b32 v1, v1, v17 :: v_dual_add_nc_u32 v10, 0x100, v10
	v_dual_cndmask_b32 v7, v7, v19 :: v_dual_and_b32 v18, 0x7fffffff, v18
	s_delay_alu instid0(VALU_DEP_2) | instskip(NEXT) | instid1(VALU_DEP_2)
	v_cmp_ge_i32_e64 s6, v10, v23
	v_cndmask_b32_e32 v2, v2, v18, vcc_lo
	s_delay_alu instid0(VALU_DEP_2) | instskip(NEXT) | instid1(SALU_CYCLE_1)
	s_or_b32 s58, s6, s58
	s_and_not1_b32 exec_lo, exec_lo, s58
	s_cbranch_execnz .LBB4_22
; %bb.23:                               ;   in Loop: Header=BB4_6 Depth=1
	s_or_b32 exec_lo, exec_lo, s58
.LBB4_24:                               ;   in Loop: Header=BB4_6 Depth=1
	s_delay_alu instid0(SALU_CYCLE_1) | instskip(NEXT) | instid1(SALU_CYCLE_1)
	s_or_b32 exec_lo, exec_lo, s7
	s_mov_b32 s58, exec_lo
	ds_store_b64 v28, v[1:2]
	ds_store_b32 v29, v7
	s_waitcnt lgkmcnt(0)
	s_barrier
	buffer_gl0_inv
	v_cmpx_lt_i32_e32 2, v24
	s_cbranch_execz .LBB4_60
; %bb.25:                               ;   in Loop: Header=BB4_6 Depth=1
	s_and_saveexec_b32 s7, s0
	s_cbranch_execz .LBB4_31
; %bb.26:                               ;   in Loop: Header=BB4_6 Depth=1
	ds_load_b64 v[3:4], v28 offset:1024
	ds_load_b32 v10, v29 offset:512
	s_mov_b32 s60, exec_lo
	s_waitcnt lgkmcnt(1)
	v_cmp_lt_f64_e64 s59, v[1:2], v[3:4]
	v_cmpx_nlt_f64_e32 v[1:2], v[3:4]
	s_cbranch_execz .LBB4_28
; %bb.27:                               ;   in Loop: Header=BB4_6 Depth=1
	v_cmp_eq_f64_e32 vcc_lo, v[1:2], v[3:4]
	s_waitcnt lgkmcnt(0)
	v_cmp_gt_i32_e64 s6, v7, v10
	s_delay_alu instid0(VALU_DEP_4) | instskip(NEXT) | instid1(VALU_DEP_1)
	s_and_not1_b32 s59, s59, exec_lo
	s_and_b32 s6, vcc_lo, s6
	s_delay_alu instid0(SALU_CYCLE_1) | instskip(NEXT) | instid1(SALU_CYCLE_1)
	s_and_b32 s6, s6, exec_lo
	s_or_b32 s59, s59, s6
.LBB4_28:                               ;   in Loop: Header=BB4_6 Depth=1
	s_or_b32 exec_lo, exec_lo, s60
	s_delay_alu instid0(VALU_DEP_2)
	s_and_saveexec_b32 s6, s59
	s_cbranch_execz .LBB4_30
; %bb.29:                               ;   in Loop: Header=BB4_6 Depth=1
	v_mov_b32_e32 v1, v3
	s_waitcnt lgkmcnt(0)
	v_dual_mov_b32 v7, v10 :: v_dual_mov_b32 v2, v4
	ds_store_b64 v28, v[3:4]
	ds_store_b32 v29, v10
.LBB4_30:                               ;   in Loop: Header=BB4_6 Depth=1
	s_or_b32 exec_lo, exec_lo, s6
.LBB4_31:                               ;   in Loop: Header=BB4_6 Depth=1
	s_delay_alu instid0(SALU_CYCLE_1)
	s_or_b32 exec_lo, exec_lo, s7
	s_waitcnt lgkmcnt(0)
	s_barrier
	buffer_gl0_inv
	s_and_saveexec_b32 s7, s1
	s_cbranch_execz .LBB4_37
; %bb.32:                               ;   in Loop: Header=BB4_6 Depth=1
	ds_load_b64 v[3:4], v28 offset:512
	ds_load_b32 v10, v29 offset:256
	s_mov_b32 s60, exec_lo
	s_waitcnt lgkmcnt(1)
	v_cmp_lt_f64_e64 s59, v[1:2], v[3:4]
	v_cmpx_nlt_f64_e32 v[1:2], v[3:4]
	s_cbranch_execz .LBB4_34
; %bb.33:                               ;   in Loop: Header=BB4_6 Depth=1
	v_cmp_eq_f64_e32 vcc_lo, v[1:2], v[3:4]
	s_waitcnt lgkmcnt(0)
	v_cmp_gt_i32_e64 s6, v7, v10
	s_delay_alu instid0(VALU_DEP_4) | instskip(NEXT) | instid1(VALU_DEP_1)
	s_and_not1_b32 s59, s59, exec_lo
	s_and_b32 s6, vcc_lo, s6
	s_delay_alu instid0(SALU_CYCLE_1) | instskip(NEXT) | instid1(SALU_CYCLE_1)
	s_and_b32 s6, s6, exec_lo
	s_or_b32 s59, s59, s6
.LBB4_34:                               ;   in Loop: Header=BB4_6 Depth=1
	s_or_b32 exec_lo, exec_lo, s60
	s_delay_alu instid0(VALU_DEP_2)
	s_and_saveexec_b32 s6, s59
	s_cbranch_execz .LBB4_36
; %bb.35:                               ;   in Loop: Header=BB4_6 Depth=1
	v_mov_b32_e32 v1, v3
	s_waitcnt lgkmcnt(0)
	v_dual_mov_b32 v7, v10 :: v_dual_mov_b32 v2, v4
	ds_store_b64 v28, v[3:4]
	ds_store_b32 v29, v10
.LBB4_36:                               ;   in Loop: Header=BB4_6 Depth=1
	s_or_b32 exec_lo, exec_lo, s6
.LBB4_37:                               ;   in Loop: Header=BB4_6 Depth=1
	s_delay_alu instid0(SALU_CYCLE_1)
	s_or_b32 exec_lo, exec_lo, s7
	s_waitcnt lgkmcnt(0)
	s_barrier
	buffer_gl0_inv
	s_and_b32 exec_lo, exec_lo, s3
	s_cbranch_execz .LBB4_60
; %bb.38:                               ;   in Loop: Header=BB4_6 Depth=1
	ds_load_b64 v[3:4], v28 offset:256
	ds_load_b32 v10, v29 offset:128
	s_mov_b32 s59, exec_lo
	s_waitcnt lgkmcnt(1)
	v_cmp_lt_f64_e64 s7, v[1:2], v[3:4]
	v_cmpx_nlt_f64_e32 v[1:2], v[3:4]
	s_cbranch_execz .LBB4_40
; %bb.39:                               ;   in Loop: Header=BB4_6 Depth=1
	v_cmp_eq_f64_e32 vcc_lo, v[1:2], v[3:4]
	s_waitcnt lgkmcnt(0)
	v_cmp_gt_i32_e64 s6, v7, v10
	s_delay_alu instid0(VALU_DEP_4) | instskip(NEXT) | instid1(VALU_DEP_1)
	s_and_not1_b32 s7, s7, exec_lo
	s_and_b32 s6, vcc_lo, s6
	s_delay_alu instid0(SALU_CYCLE_1) | instskip(NEXT) | instid1(SALU_CYCLE_1)
	s_and_b32 s6, s6, exec_lo
	s_or_b32 s7, s7, s6
.LBB4_40:                               ;   in Loop: Header=BB4_6 Depth=1
	s_or_b32 exec_lo, exec_lo, s59
	s_delay_alu instid0(VALU_DEP_2)
	s_and_saveexec_b32 s6, s7
	s_cbranch_execz .LBB4_42
; %bb.41:                               ;   in Loop: Header=BB4_6 Depth=1
	v_dual_mov_b32 v1, v3 :: v_dual_mov_b32 v2, v4
	s_waitcnt lgkmcnt(0)
	v_mov_b32_e32 v7, v10
	ds_store_b64 v28, v[3:4]
	ds_store_b32 v29, v10
.LBB4_42:                               ;   in Loop: Header=BB4_6 Depth=1
	s_or_b32 exec_lo, exec_lo, s6
	ds_load_b64 v[3:4], v28 offset:128
	s_waitcnt lgkmcnt(1)
	ds_load_b32 v10, v29 offset:64
	s_mov_b32 s59, exec_lo
	s_waitcnt lgkmcnt(1)
	v_cmp_lt_f64_e64 s7, v[1:2], v[3:4]
	v_cmpx_nlt_f64_e32 v[1:2], v[3:4]
	s_cbranch_execz .LBB4_44
; %bb.43:                               ;   in Loop: Header=BB4_6 Depth=1
	v_cmp_eq_f64_e32 vcc_lo, v[1:2], v[3:4]
	s_waitcnt lgkmcnt(0)
	v_cmp_gt_i32_e64 s6, v7, v10
	s_delay_alu instid0(VALU_DEP_4) | instskip(NEXT) | instid1(VALU_DEP_1)
	s_and_not1_b32 s7, s7, exec_lo
	s_and_b32 s6, vcc_lo, s6
	s_delay_alu instid0(SALU_CYCLE_1) | instskip(NEXT) | instid1(SALU_CYCLE_1)
	s_and_b32 s6, s6, exec_lo
	s_or_b32 s7, s7, s6
.LBB4_44:                               ;   in Loop: Header=BB4_6 Depth=1
	s_or_b32 exec_lo, exec_lo, s59
	s_delay_alu instid0(VALU_DEP_2)
	s_and_saveexec_b32 s6, s7
	s_cbranch_execz .LBB4_46
; %bb.45:                               ;   in Loop: Header=BB4_6 Depth=1
	v_dual_mov_b32 v1, v3 :: v_dual_mov_b32 v2, v4
	s_waitcnt lgkmcnt(0)
	v_mov_b32_e32 v7, v10
	ds_store_b64 v28, v[3:4]
	ds_store_b32 v29, v10
.LBB4_46:                               ;   in Loop: Header=BB4_6 Depth=1
	s_or_b32 exec_lo, exec_lo, s6
	ds_load_b64 v[3:4], v28 offset:64
	s_waitcnt lgkmcnt(1)
	;; [unrolled: 31-line block ×5, first 2 shown]
	ds_load_b32 v10, v29 offset:4
	s_waitcnt lgkmcnt(1)
	v_cmp_eq_f64_e32 vcc_lo, v[1:2], v[3:4]
	v_cmp_lt_f64_e64 s6, v[1:2], v[3:4]
	s_waitcnt lgkmcnt(0)
	v_cmp_gt_i32_e64 s7, v7, v10
	s_delay_alu instid0(VALU_DEP_1)
	s_and_b32 s7, vcc_lo, s7
	s_delay_alu instid0(VALU_DEP_2) | instid1(SALU_CYCLE_1)
	s_or_b32 s6, s6, s7
	s_delay_alu instid0(SALU_CYCLE_1)
	s_and_b32 exec_lo, exec_lo, s6
	s_cbranch_execz .LBB4_60
; %bb.59:                               ;   in Loop: Header=BB4_6 Depth=1
	ds_store_b64 v28, v[3:4]
	ds_store_b32 v29, v10
.LBB4_60:                               ;   in Loop: Header=BB4_6 Depth=1
	s_or_b32 exec_lo, exec_lo, s58
	s_and_saveexec_b32 s6, s2
	s_cbranch_execz .LBB4_62
; %bb.61:                               ;   in Loop: Header=BB4_6 Depth=1
	global_load_b64 v[1:2], v[11:12], off
	ds_load_b32 v7, v8 offset:2048
	ds_load_b64 v[3:4], v8
	s_waitcnt lgkmcnt(1)
	v_add_nc_u32_e32 v7, v7, v5
	s_waitcnt vmcnt(0)
	v_and_b32_e32 v2, 0x7fffffff, v2
	ds_store_b32 v8, v7 offset:3096
	s_waitcnt lgkmcnt(1)
	ds_store_b128 v8, v[1:4] offset:3072
.LBB4_62:                               ;   in Loop: Header=BB4_6 Depth=1
	s_or_b32 exec_lo, exec_lo, s6
	s_waitcnt lgkmcnt(0)
	s_barrier
	buffer_gl0_inv
	ds_load_b128 v[1:4], v8 offset:3072
	v_add_nc_u32_e32 v41, 1, v5
	s_waitcnt lgkmcnt(0)
	v_cmp_lt_f64_e32 vcc_lo, v[1:2], v[3:4]
	v_dual_cndmask_b32 v18, v2, v4 :: v_dual_cndmask_b32 v17, v1, v3
	s_delay_alu instid0(VALU_DEP_1)
	v_cmp_neq_f64_e32 vcc_lo, 0, v[17:18]
	s_cbranch_vccz .LBB4_80
; %bb.63:                               ;   in Loop: Header=BB4_6 Depth=1
	v_mul_f64 v[3:4], v[3:4], s[38:39]
	s_delay_alu instid0(VALU_DEP_1)
	v_cmp_ge_f64_e32 vcc_lo, v[1:2], v[3:4]
	s_cbranch_vccnz .LBB4_175
; %bb.64:                               ;   in Loop: Header=BB4_6 Depth=1
	ds_load_b32 v2, v8 offset:3096
	s_mov_b32 s7, exec_lo
	s_waitcnt lgkmcnt(0)
	v_sub_nc_u32_e32 v1, v2, v5
	s_delay_alu instid0(VALU_DEP_1)
	v_cmpx_gt_i32_e64 v1, v0
	s_cbranch_execz .LBB4_67
; %bb.65:                               ;   in Loop: Header=BB4_6 Depth=1
	v_add_nc_u32_e32 v7, v0, v5
	s_mov_b32 s58, 0
	s_delay_alu instid0(VALU_DEP_1) | instskip(NEXT) | instid1(VALU_DEP_1)
	v_mad_u64_u32 v[3:4], null, v41, s18, v[7:8]
	v_ashrrev_i32_e32 v4, 31, v3
	s_delay_alu instid0(VALU_DEP_1) | instskip(SKIP_2) | instid1(VALU_DEP_3)
	v_lshlrev_b64 v[17:18], 3, v[3:4]
	v_mad_u64_u32 v[3:4], null, s17, v7, v[2:3]
	v_mov_b32_e32 v7, v0
	v_add_co_u32 v17, vcc_lo, s52, v17
	s_delay_alu instid0(VALU_DEP_4)
	v_add_co_ci_u32_e32 v18, vcc_lo, s53, v18, vcc_lo
	.p2align	6
.LBB4_66:                               ;   Parent Loop BB4_6 Depth=1
                                        ; =>  This Inner Loop Header: Depth=2
	s_delay_alu instid0(VALU_DEP_4) | instskip(NEXT) | instid1(VALU_DEP_4)
	v_ashrrev_i32_e32 v4, 31, v3
	v_add_nc_u32_e32 v7, 0x100, v7
	s_delay_alu instid0(VALU_DEP_2) | instskip(SKIP_1) | instid1(VALU_DEP_2)
	v_lshlrev_b64 v[19:20], 3, v[3:4]
	v_add_nc_u32_e32 v3, s8, v3
	v_add_co_u32 v19, vcc_lo, s16, v19
	s_delay_alu instid0(VALU_DEP_3)
	v_add_co_ci_u32_e32 v20, vcc_lo, s33, v20, vcc_lo
	v_cmp_ge_i32_e32 vcc_lo, v7, v1
	global_load_b64 v[19:20], v[19:20], off
	s_or_b32 s58, vcc_lo, s58
	s_waitcnt vmcnt(0)
	global_store_b64 v[17:18], v[19:20], off
	v_add_co_u32 v17, s6, 0x800, v17
	s_delay_alu instid0(VALU_DEP_1)
	v_add_co_ci_u32_e64 v18, s6, 0, v18, s6
	s_and_not1_b32 exec_lo, exec_lo, s58
	s_cbranch_execnz .LBB4_66
.LBB4_67:                               ;   in Loop: Header=BB4_6 Depth=1
	s_or_b32 exec_lo, exec_lo, s7
	v_sub_nc_u32_e32 v4, s18, v2
	s_mov_b32 s6, exec_lo
                                        ; implicit-def: $vgpr1
	s_delay_alu instid0(VALU_DEP_1)
	v_cmpx_le_i32_e64 v4, v0
	s_xor_b32 s6, exec_lo, s6
; %bb.68:                               ;   in Loop: Header=BB4_6 Depth=1
	v_mul_lo_u32 v1, v41, s18
                                        ; implicit-def: $vgpr4
                                        ; implicit-def: $vgpr2
; %bb.69:                               ;   in Loop: Header=BB4_6 Depth=1
	s_and_not1_saveexec_b32 s7, s6
	s_cbranch_execz .LBB4_73
; %bb.70:                               ;   in Loop: Header=BB4_6 Depth=1
	v_mul_lo_u32 v1, v41, s18
	v_mov_b32_e32 v7, v0
	s_mov_b32 s58, 0
	s_delay_alu instid0(VALU_DEP_2) | instskip(SKIP_1) | instid1(VALU_DEP_1)
	v_mad_u64_u32 v[17:18], null, s47, v2, v[0:1]
	v_add3_u32 v2, v0, v2, v1
	v_ashrrev_i32_e32 v3, 31, v2
	s_delay_alu instid0(VALU_DEP_3) | instskip(NEXT) | instid1(VALU_DEP_2)
	v_ashrrev_i32_e32 v18, 31, v17
	v_lshlrev_b64 v[19:20], 3, v[2:3]
	s_delay_alu instid0(VALU_DEP_2) | instskip(NEXT) | instid1(VALU_DEP_1)
	v_lshlrev_b64 v[17:18], 3, v[17:18]
	v_add_co_u32 v2, vcc_lo, s54, v17
	s_delay_alu instid0(VALU_DEP_2) | instskip(NEXT) | instid1(VALU_DEP_4)
	v_add_co_ci_u32_e32 v3, vcc_lo, s55, v18, vcc_lo
	v_add_co_u32 v17, vcc_lo, s52, v19
	v_add_co_ci_u32_e32 v18, vcc_lo, s53, v20, vcc_lo
	.p2align	6
.LBB4_71:                               ;   Parent Loop BB4_6 Depth=1
                                        ; =>  This Inner Loop Header: Depth=2
	global_load_b64 v[19:20], v[2:3], off
	v_add_nc_u32_e32 v7, 0x100, v7
	v_add_co_u32 v2, vcc_lo, 0x800, v2
	v_add_co_ci_u32_e32 v3, vcc_lo, 0, v3, vcc_lo
	s_delay_alu instid0(VALU_DEP_3) | instskip(SKIP_4) | instid1(VALU_DEP_1)
	v_cmp_ge_i32_e32 vcc_lo, v7, v4
	s_or_b32 s58, vcc_lo, s58
	s_waitcnt vmcnt(0)
	global_store_b64 v[17:18], v[19:20], off
	v_add_co_u32 v17, s6, 0x800, v17
	v_add_co_ci_u32_e64 v18, s6, 0, v18, s6
	s_and_not1_b32 exec_lo, exec_lo, s58
	s_cbranch_execnz .LBB4_71
; %bb.72:                               ;   in Loop: Header=BB4_6 Depth=1
	s_or_b32 exec_lo, exec_lo, s58
.LBB4_73:                               ;   in Loop: Header=BB4_6 Depth=1
	s_delay_alu instid0(SALU_CYCLE_1) | instskip(NEXT) | instid1(VALU_DEP_1)
	s_or_b32 exec_lo, exec_lo, s7
	v_ashrrev_i32_e32 v2, 31, v1
	s_waitcnt_vscnt null, 0x0
	s_barrier
	buffer_gl0_inv
	s_and_saveexec_b32 s58, s5
	s_cbranch_execz .LBB4_81
; %bb.74:                               ;   in Loop: Header=BB4_6 Depth=1
	ds_load_b32 v17, v8 offset:3096
	v_lshlrev_b64 v[19:20], 3, v[1:2]
	v_add_co_u32 v3, s6, v31, v13
	s_delay_alu instid0(VALU_DEP_1) | instskip(SKIP_1) | instid1(VALU_DEP_4)
	v_add_co_ci_u32_e64 v4, s6, v32, v14, s6
	v_cmp_ne_u32_e32 vcc_lo, 0, v5
	v_add_co_u32 v10, s6, v15, v19
	s_delay_alu instid0(VALU_DEP_1) | instskip(SKIP_4) | instid1(VALU_DEP_1)
	v_add_co_ci_u32_e64 v25, s6, v16, v20, s6
	v_mov_b32_e32 v7, v0
	s_mov_b32 s59, 0
	s_waitcnt lgkmcnt(0)
	v_ashrrev_i32_e32 v18, 31, v17
	v_lshlrev_b64 v[17:18], 3, v[17:18]
	s_delay_alu instid0(VALU_DEP_1) | instskip(NEXT) | instid1(VALU_DEP_1)
	v_add_co_u32 v15, s6, s20, v17
	v_add_co_ci_u32_e64 v16, s6, s21, v18, s6
	s_branch .LBB4_76
.LBB4_75:                               ;   in Loop: Header=BB4_76 Depth=2
	s_or_b32 exec_lo, exec_lo, s60
	v_lshlrev_b64 v[19:20], 3, v[7:8]
	v_add_nc_u32_e32 v7, 0x100, v7
	v_add_co_u32 v3, s7, 0x800, v3
	s_delay_alu instid0(VALU_DEP_1) | instskip(NEXT) | instid1(VALU_DEP_4)
	v_add_co_ci_u32_e64 v4, s7, 0, v4, s7
	v_add_co_u32 v19, s6, v10, v19
	s_delay_alu instid0(VALU_DEP_1)
	v_add_co_ci_u32_e64 v20, s6, v25, v20, s6
	v_cmp_ge_i32_e64 s6, v7, v24
	global_load_b64 v[21:22], v[19:20], off
	s_or_b32 s59, s6, s59
	s_waitcnt vmcnt(0)
	v_add_f64 v[17:18], v[21:22], -v[17:18]
	global_store_b64 v[19:20], v[17:18], off
	s_and_not1_b32 exec_lo, exec_lo, s59
	s_cbranch_execz .LBB4_81
.LBB4_76:                               ;   Parent Loop BB4_6 Depth=1
                                        ; =>  This Loop Header: Depth=2
                                        ;       Child Loop BB4_78 Depth 3
	v_mov_b32_e32 v17, 0
	v_mov_b32_e32 v18, 0
	s_and_saveexec_b32 s60, vcc_lo
	s_cbranch_execz .LBB4_75
; %bb.77:                               ;   in Loop: Header=BB4_76 Depth=2
	v_dual_mov_b32 v17, 0 :: v_dual_mov_b32 v20, v4
	v_dual_mov_b32 v18, 0 :: v_dual_mov_b32 v19, v3
	v_dual_mov_b32 v22, v16 :: v_dual_mov_b32 v21, v15
	v_mov_b32_e32 v26, v5
	s_mov_b32 s61, 0
	.p2align	6
.LBB4_78:                               ;   Parent Loop BB4_6 Depth=1
                                        ;     Parent Loop BB4_76 Depth=2
                                        ; =>    This Inner Loop Header: Depth=3
	global_load_b64 v[42:43], v[19:20], off
	global_load_b64 v[44:45], v[21:22], off
	v_add_nc_u32_e32 v26, -1, v26
	v_add_co_u32 v21, s6, v21, s34
	s_delay_alu instid0(VALU_DEP_1) | instskip(NEXT) | instid1(VALU_DEP_3)
	v_add_co_ci_u32_e64 v22, s6, s35, v22, s6
	v_cmp_eq_u32_e64 s6, 0, v26
	v_add_co_u32 v19, s7, v19, s36
	s_delay_alu instid0(VALU_DEP_1) | instskip(NEXT) | instid1(VALU_DEP_3)
	v_add_co_ci_u32_e64 v20, s7, s37, v20, s7
	s_or_b32 s61, s6, s61
	s_waitcnt vmcnt(0)
	v_fma_f64 v[17:18], v[42:43], v[44:45], v[17:18]
	s_and_not1_b32 exec_lo, exec_lo, s61
	s_cbranch_execnz .LBB4_78
; %bb.79:                               ;   in Loop: Header=BB4_76 Depth=2
	s_or_b32 exec_lo, exec_lo, s61
	s_branch .LBB4_75
.LBB4_80:                               ;   in Loop: Header=BB4_6 Depth=1
                                        ; implicit-def: $sgpr5
                                        ; implicit-def: $vgpr2
                                        ; implicit-def: $vgpr1
	s_cbranch_execnz .LBB4_208
	s_branch .LBB4_211
.LBB4_81:                               ;   in Loop: Header=BB4_6 Depth=1
	s_or_b32 exec_lo, exec_lo, s58
	s_waitcnt_vscnt null, 0x0
	s_barrier
	buffer_gl0_inv
	ds_load_b32 v3, v8 offset:3096
	v_bfrev_b32_e32 v7, -2
	s_mov_b32 s7, exec_lo
	s_waitcnt lgkmcnt(0)
	v_sub_nc_u32_e32 v10, v3, v5
	v_mov_b32_e32 v3, 0
	v_mov_b32_e32 v4, 0
	s_delay_alu instid0(VALU_DEP_3)
	v_cmpx_gt_i32_e64 v10, v0
	s_cbranch_execz .LBB4_85
; %bb.82:                               ;   in Loop: Header=BB4_6 Depth=1
	v_lshlrev_b64 v[3:4], 3, v[1:2]
	v_bfrev_b32_e32 v7, -2
	s_mov_b32 s58, 0
	v_mov_b32_e32 v17, v0
	s_delay_alu instid0(VALU_DEP_3) | instskip(NEXT) | instid1(VALU_DEP_4)
	v_add_co_u32 v15, vcc_lo, v3, v13
	v_add_co_ci_u32_e32 v16, vcc_lo, v4, v14, vcc_lo
	v_mov_b32_e32 v3, 0
	s_delay_alu instid0(VALU_DEP_3) | instskip(SKIP_1) | instid1(VALU_DEP_4)
	v_add_co_u32 v15, vcc_lo, v34, v15
	v_mov_b32_e32 v4, 0
	v_add_co_ci_u32_e32 v16, vcc_lo, v35, v16, vcc_lo
	.p2align	6
.LBB4_83:                               ;   Parent Loop BB4_6 Depth=1
                                        ; =>  This Inner Loop Header: Depth=2
	global_load_b64 v[18:19], v[15:16], off
	v_cmp_eq_u32_e32 vcc_lo, 0x7fffffff, v7
	v_add_co_u32 v15, s6, 0x800, v15
	s_delay_alu instid0(VALU_DEP_1) | instskip(SKIP_3) | instid1(VALU_DEP_2)
	v_add_co_ci_u32_e64 v16, s6, 0, v16, s6
	s_waitcnt vmcnt(0)
	v_cmp_lt_f64_e64 s59, v[3:4], |v[18:19]|
	v_and_b32_e32 v19, 0x7fffffff, v19
	s_or_b32 vcc_lo, s59, vcc_lo
	v_dual_cndmask_b32 v3, v3, v18 :: v_dual_add_nc_u32 v20, 1, v17
	s_delay_alu instid0(VALU_DEP_2) | instskip(NEXT) | instid1(VALU_DEP_2)
	v_dual_cndmask_b32 v4, v4, v19 :: v_dual_add_nc_u32 v17, 0x100, v17
	v_cndmask_b32_e32 v7, v7, v20, vcc_lo
	s_delay_alu instid0(VALU_DEP_2) | instskip(NEXT) | instid1(VALU_DEP_1)
	v_cmp_ge_i32_e64 s6, v17, v10
	s_or_b32 s58, s6, s58
	s_delay_alu instid0(SALU_CYCLE_1)
	s_and_not1_b32 exec_lo, exec_lo, s58
	s_cbranch_execnz .LBB4_83
; %bb.84:                               ;   in Loop: Header=BB4_6 Depth=1
	s_or_b32 exec_lo, exec_lo, s58
.LBB4_85:                               ;   in Loop: Header=BB4_6 Depth=1
	s_delay_alu instid0(SALU_CYCLE_1) | instskip(NEXT) | instid1(SALU_CYCLE_1)
	s_or_b32 exec_lo, exec_lo, s7
	s_mov_b32 s58, exec_lo
	ds_store_b64 v28, v[3:4]
	ds_store_b32 v29, v7
	s_waitcnt lgkmcnt(0)
	s_barrier
	buffer_gl0_inv
	v_cmpx_lt_i32_e32 1, v10
	s_cbranch_execz .LBB4_121
; %bb.86:                               ;   in Loop: Header=BB4_6 Depth=1
	s_and_saveexec_b32 s7, s0
	s_cbranch_execz .LBB4_92
; %bb.87:                               ;   in Loop: Header=BB4_6 Depth=1
	ds_load_b64 v[15:16], v28 offset:1024
	ds_load_b32 v10, v29 offset:512
	s_mov_b32 s60, exec_lo
	s_waitcnt lgkmcnt(1)
	v_cmp_lt_f64_e64 s59, v[3:4], v[15:16]
	v_cmpx_nlt_f64_e32 v[3:4], v[15:16]
	s_cbranch_execz .LBB4_89
; %bb.88:                               ;   in Loop: Header=BB4_6 Depth=1
	v_cmp_eq_f64_e32 vcc_lo, v[3:4], v[15:16]
	s_waitcnt lgkmcnt(0)
	v_cmp_gt_i32_e64 s6, v7, v10
	s_delay_alu instid0(VALU_DEP_4) | instskip(NEXT) | instid1(VALU_DEP_1)
	s_and_not1_b32 s59, s59, exec_lo
	s_and_b32 s6, vcc_lo, s6
	s_delay_alu instid0(SALU_CYCLE_1) | instskip(NEXT) | instid1(SALU_CYCLE_1)
	s_and_b32 s6, s6, exec_lo
	s_or_b32 s59, s59, s6
.LBB4_89:                               ;   in Loop: Header=BB4_6 Depth=1
	s_or_b32 exec_lo, exec_lo, s60
	s_delay_alu instid0(VALU_DEP_2)
	s_and_saveexec_b32 s6, s59
	s_cbranch_execz .LBB4_91
; %bb.90:                               ;   in Loop: Header=BB4_6 Depth=1
	v_mov_b32_e32 v3, v15
	s_waitcnt lgkmcnt(0)
	v_dual_mov_b32 v7, v10 :: v_dual_mov_b32 v4, v16
	ds_store_b64 v28, v[15:16]
	ds_store_b32 v29, v10
.LBB4_91:                               ;   in Loop: Header=BB4_6 Depth=1
	s_or_b32 exec_lo, exec_lo, s6
.LBB4_92:                               ;   in Loop: Header=BB4_6 Depth=1
	s_delay_alu instid0(SALU_CYCLE_1)
	s_or_b32 exec_lo, exec_lo, s7
	s_waitcnt lgkmcnt(0)
	s_barrier
	buffer_gl0_inv
	s_and_saveexec_b32 s7, s1
	s_cbranch_execz .LBB4_98
; %bb.93:                               ;   in Loop: Header=BB4_6 Depth=1
	ds_load_b64 v[15:16], v28 offset:512
	ds_load_b32 v10, v29 offset:256
	s_mov_b32 s60, exec_lo
	s_waitcnt lgkmcnt(1)
	v_cmp_lt_f64_e64 s59, v[3:4], v[15:16]
	v_cmpx_nlt_f64_e32 v[3:4], v[15:16]
	s_cbranch_execz .LBB4_95
; %bb.94:                               ;   in Loop: Header=BB4_6 Depth=1
	v_cmp_eq_f64_e32 vcc_lo, v[3:4], v[15:16]
	s_waitcnt lgkmcnt(0)
	v_cmp_gt_i32_e64 s6, v7, v10
	s_delay_alu instid0(VALU_DEP_4) | instskip(NEXT) | instid1(VALU_DEP_1)
	s_and_not1_b32 s59, s59, exec_lo
	s_and_b32 s6, vcc_lo, s6
	s_delay_alu instid0(SALU_CYCLE_1) | instskip(NEXT) | instid1(SALU_CYCLE_1)
	s_and_b32 s6, s6, exec_lo
	s_or_b32 s59, s59, s6
.LBB4_95:                               ;   in Loop: Header=BB4_6 Depth=1
	s_or_b32 exec_lo, exec_lo, s60
	s_delay_alu instid0(VALU_DEP_2)
	s_and_saveexec_b32 s6, s59
	s_cbranch_execz .LBB4_97
; %bb.96:                               ;   in Loop: Header=BB4_6 Depth=1
	v_mov_b32_e32 v3, v15
	s_waitcnt lgkmcnt(0)
	v_dual_mov_b32 v7, v10 :: v_dual_mov_b32 v4, v16
	ds_store_b64 v28, v[15:16]
	ds_store_b32 v29, v10
.LBB4_97:                               ;   in Loop: Header=BB4_6 Depth=1
	s_or_b32 exec_lo, exec_lo, s6
.LBB4_98:                               ;   in Loop: Header=BB4_6 Depth=1
	s_delay_alu instid0(SALU_CYCLE_1)
	s_or_b32 exec_lo, exec_lo, s7
	s_waitcnt lgkmcnt(0)
	s_barrier
	buffer_gl0_inv
	s_and_b32 exec_lo, exec_lo, s3
	s_cbranch_execz .LBB4_121
; %bb.99:                               ;   in Loop: Header=BB4_6 Depth=1
	ds_load_b64 v[15:16], v28 offset:256
	ds_load_b32 v10, v29 offset:128
	s_mov_b32 s59, exec_lo
	s_waitcnt lgkmcnt(1)
	v_cmp_lt_f64_e64 s7, v[3:4], v[15:16]
	v_cmpx_nlt_f64_e32 v[3:4], v[15:16]
	s_cbranch_execz .LBB4_101
; %bb.100:                              ;   in Loop: Header=BB4_6 Depth=1
	v_cmp_eq_f64_e32 vcc_lo, v[3:4], v[15:16]
	s_waitcnt lgkmcnt(0)
	v_cmp_gt_i32_e64 s6, v7, v10
	s_delay_alu instid0(VALU_DEP_4) | instskip(NEXT) | instid1(VALU_DEP_1)
	s_and_not1_b32 s7, s7, exec_lo
	s_and_b32 s6, vcc_lo, s6
	s_delay_alu instid0(SALU_CYCLE_1) | instskip(NEXT) | instid1(SALU_CYCLE_1)
	s_and_b32 s6, s6, exec_lo
	s_or_b32 s7, s7, s6
.LBB4_101:                              ;   in Loop: Header=BB4_6 Depth=1
	s_or_b32 exec_lo, exec_lo, s59
	s_delay_alu instid0(VALU_DEP_2)
	s_and_saveexec_b32 s6, s7
	s_cbranch_execz .LBB4_103
; %bb.102:                              ;   in Loop: Header=BB4_6 Depth=1
	v_dual_mov_b32 v3, v15 :: v_dual_mov_b32 v4, v16
	s_waitcnt lgkmcnt(0)
	v_mov_b32_e32 v7, v10
	ds_store_b64 v28, v[15:16]
	ds_store_b32 v29, v10
.LBB4_103:                              ;   in Loop: Header=BB4_6 Depth=1
	s_or_b32 exec_lo, exec_lo, s6
	ds_load_b64 v[15:16], v28 offset:128
	s_waitcnt lgkmcnt(1)
	ds_load_b32 v10, v29 offset:64
	s_mov_b32 s59, exec_lo
	s_waitcnt lgkmcnt(1)
	v_cmp_lt_f64_e64 s7, v[3:4], v[15:16]
	v_cmpx_nlt_f64_e32 v[3:4], v[15:16]
	s_cbranch_execz .LBB4_105
; %bb.104:                              ;   in Loop: Header=BB4_6 Depth=1
	v_cmp_eq_f64_e32 vcc_lo, v[3:4], v[15:16]
	s_waitcnt lgkmcnt(0)
	v_cmp_gt_i32_e64 s6, v7, v10
	s_delay_alu instid0(VALU_DEP_4) | instskip(NEXT) | instid1(VALU_DEP_1)
	s_and_not1_b32 s7, s7, exec_lo
	s_and_b32 s6, vcc_lo, s6
	s_delay_alu instid0(SALU_CYCLE_1) | instskip(NEXT) | instid1(SALU_CYCLE_1)
	s_and_b32 s6, s6, exec_lo
	s_or_b32 s7, s7, s6
.LBB4_105:                              ;   in Loop: Header=BB4_6 Depth=1
	s_or_b32 exec_lo, exec_lo, s59
	s_delay_alu instid0(VALU_DEP_2)
	s_and_saveexec_b32 s6, s7
	s_cbranch_execz .LBB4_107
; %bb.106:                              ;   in Loop: Header=BB4_6 Depth=1
	v_dual_mov_b32 v3, v15 :: v_dual_mov_b32 v4, v16
	s_waitcnt lgkmcnt(0)
	v_mov_b32_e32 v7, v10
	ds_store_b64 v28, v[15:16]
	ds_store_b32 v29, v10
.LBB4_107:                              ;   in Loop: Header=BB4_6 Depth=1
	s_or_b32 exec_lo, exec_lo, s6
	ds_load_b64 v[15:16], v28 offset:64
	s_waitcnt lgkmcnt(1)
	;; [unrolled: 31-line block ×5, first 2 shown]
	ds_load_b32 v10, v29 offset:4
	s_waitcnt lgkmcnt(1)
	v_cmp_eq_f64_e32 vcc_lo, v[3:4], v[15:16]
	v_cmp_lt_f64_e64 s6, v[3:4], v[15:16]
	s_waitcnt lgkmcnt(0)
	v_cmp_gt_i32_e64 s7, v7, v10
	s_delay_alu instid0(VALU_DEP_1)
	s_and_b32 s7, vcc_lo, s7
	s_delay_alu instid0(VALU_DEP_2) | instid1(SALU_CYCLE_1)
	s_or_b32 s6, s6, s7
	s_delay_alu instid0(SALU_CYCLE_1)
	s_and_b32 exec_lo, exec_lo, s6
	s_cbranch_execz .LBB4_121
; %bb.120:                              ;   in Loop: Header=BB4_6 Depth=1
	ds_store_b64 v28, v[15:16]
	ds_store_b32 v29, v10
.LBB4_121:                              ;   in Loop: Header=BB4_6 Depth=1
	s_or_b32 exec_lo, exec_lo, s58
	s_and_saveexec_b32 s6, s2
	s_cbranch_execz .LBB4_123
; %bb.122:                              ;   in Loop: Header=BB4_6 Depth=1
	ds_load_b64 v[3:4], v8
	s_waitcnt lgkmcnt(0)
	ds_store_b64 v8, v[3:4] offset:3088
.LBB4_123:                              ;   in Loop: Header=BB4_6 Depth=1
	s_or_b32 exec_lo, exec_lo, s6
	ds_load_b32 v3, v8 offset:3096
	s_waitcnt lgkmcnt(0)
	v_cmp_le_i32_e32 vcc_lo, s46, v3
	v_readfirstlane_b32 s6, v3
	s_cbranch_vccnz .LBB4_168
; %bb.124:                              ;   in Loop: Header=BB4_6 Depth=1
	v_mov_b32_e32 v3, 0
	v_mov_b32_e32 v4, 0
	v_bfrev_b32_e32 v7, -2
	s_not_b32 s58, s6
	s_mov_b32 s59, exec_lo
	s_add_i32 s58, s58, s18
	s_delay_alu instid0(SALU_CYCLE_1)
	v_cmpx_gt_i32_e64 s58, v0
	s_cbranch_execz .LBB4_128
; %bb.125:                              ;   in Loop: Header=BB4_6 Depth=1
	v_lshlrev_b64 v[2:3], 3, v[1:2]
	s_ashr_i32 s7, s6, 31
	v_bfrev_b32_e32 v7, -2
	s_lshl_b64 s[6:7], s[6:7], 3
	s_delay_alu instid0(VALU_DEP_2) | instid1(SALU_CYCLE_1)
	v_add_co_u32 v2, vcc_lo, v2, s6
	s_delay_alu instid0(VALU_DEP_3) | instskip(SKIP_1) | instid1(VALU_DEP_2)
	v_add_co_ci_u32_e32 v3, vcc_lo, s7, v3, vcc_lo
	s_mov_b32 s7, 0
	v_add_co_u32 v15, vcc_lo, v36, v2
	s_delay_alu instid0(VALU_DEP_2)
	v_add_co_ci_u32_e32 v16, vcc_lo, v37, v3, vcc_lo
	v_dual_mov_b32 v3, 0 :: v_dual_mov_b32 v2, v0
	v_mov_b32_e32 v4, 0
	.p2align	6
.LBB4_126:                              ;   Parent Loop BB4_6 Depth=1
                                        ; =>  This Inner Loop Header: Depth=2
	global_load_b64 v[17:18], v[15:16], off
	v_cmp_eq_u32_e32 vcc_lo, 0x7fffffff, v7
	v_add_co_u32 v15, s6, 0x800, v15
	s_delay_alu instid0(VALU_DEP_1) | instskip(SKIP_3) | instid1(VALU_DEP_2)
	v_add_co_ci_u32_e64 v16, s6, 0, v16, s6
	s_waitcnt vmcnt(0)
	v_cmp_lt_f64_e64 s60, v[3:4], |v[17:18]|
	v_and_b32_e32 v18, 0x7fffffff, v18
	s_or_b32 vcc_lo, s60, vcc_lo
	v_dual_cndmask_b32 v3, v3, v17 :: v_dual_add_nc_u32 v10, 1, v2
	v_add_nc_u32_e32 v2, 0x100, v2
	s_delay_alu instid0(VALU_DEP_3) | instskip(NEXT) | instid1(VALU_DEP_3)
	v_cndmask_b32_e32 v4, v4, v18, vcc_lo
	v_cndmask_b32_e32 v7, v7, v10, vcc_lo
	s_delay_alu instid0(VALU_DEP_3) | instskip(NEXT) | instid1(VALU_DEP_1)
	v_cmp_le_i32_e64 s6, s58, v2
	s_or_b32 s7, s6, s7
	s_delay_alu instid0(SALU_CYCLE_1)
	s_and_not1_b32 exec_lo, exec_lo, s7
	s_cbranch_execnz .LBB4_126
; %bb.127:                              ;   in Loop: Header=BB4_6 Depth=1
	s_or_b32 exec_lo, exec_lo, s7
.LBB4_128:                              ;   in Loop: Header=BB4_6 Depth=1
	s_delay_alu instid0(SALU_CYCLE_1)
	s_or_b32 exec_lo, exec_lo, s59
	s_cmp_lt_i32 s58, 2
	ds_store_b64 v28, v[3:4]
	ds_store_b32 v29, v7
	s_waitcnt lgkmcnt(0)
	s_barrier
	buffer_gl0_inv
	s_cbranch_scc1 .LBB4_165
; %bb.129:                              ;   in Loop: Header=BB4_6 Depth=1
	s_and_saveexec_b32 s7, s0
	s_cbranch_execz .LBB4_135
; %bb.130:                              ;   in Loop: Header=BB4_6 Depth=1
	ds_load_b64 v[15:16], v28 offset:1024
	ds_load_b32 v2, v29 offset:512
	s_mov_b32 s59, exec_lo
	s_waitcnt lgkmcnt(1)
	v_cmp_lt_f64_e64 s58, v[3:4], v[15:16]
	v_cmpx_nlt_f64_e32 v[3:4], v[15:16]
	s_cbranch_execz .LBB4_132
; %bb.131:                              ;   in Loop: Header=BB4_6 Depth=1
	v_cmp_eq_f64_e32 vcc_lo, v[3:4], v[15:16]
	s_waitcnt lgkmcnt(0)
	v_cmp_gt_i32_e64 s6, v7, v2
	s_delay_alu instid0(VALU_DEP_4) | instskip(NEXT) | instid1(VALU_DEP_1)
	s_and_not1_b32 s58, s58, exec_lo
	s_and_b32 s6, vcc_lo, s6
	s_delay_alu instid0(SALU_CYCLE_1) | instskip(NEXT) | instid1(SALU_CYCLE_1)
	s_and_b32 s6, s6, exec_lo
	s_or_b32 s58, s58, s6
.LBB4_132:                              ;   in Loop: Header=BB4_6 Depth=1
	s_or_b32 exec_lo, exec_lo, s59
	s_delay_alu instid0(VALU_DEP_2)
	s_and_saveexec_b32 s6, s58
	s_cbranch_execz .LBB4_134
; %bb.133:                              ;   in Loop: Header=BB4_6 Depth=1
	v_mov_b32_e32 v3, v15
	s_waitcnt lgkmcnt(0)
	v_dual_mov_b32 v7, v2 :: v_dual_mov_b32 v4, v16
	ds_store_b64 v28, v[15:16]
	ds_store_b32 v29, v2
.LBB4_134:                              ;   in Loop: Header=BB4_6 Depth=1
	s_or_b32 exec_lo, exec_lo, s6
.LBB4_135:                              ;   in Loop: Header=BB4_6 Depth=1
	s_delay_alu instid0(SALU_CYCLE_1)
	s_or_b32 exec_lo, exec_lo, s7
	s_waitcnt lgkmcnt(0)
	s_barrier
	buffer_gl0_inv
	s_and_saveexec_b32 s7, s1
	s_cbranch_execz .LBB4_141
; %bb.136:                              ;   in Loop: Header=BB4_6 Depth=1
	ds_load_b64 v[15:16], v28 offset:512
	ds_load_b32 v2, v29 offset:256
	s_mov_b32 s59, exec_lo
	s_waitcnt lgkmcnt(1)
	v_cmp_lt_f64_e64 s58, v[3:4], v[15:16]
	v_cmpx_nlt_f64_e32 v[3:4], v[15:16]
	s_cbranch_execz .LBB4_138
; %bb.137:                              ;   in Loop: Header=BB4_6 Depth=1
	v_cmp_eq_f64_e32 vcc_lo, v[3:4], v[15:16]
	s_waitcnt lgkmcnt(0)
	v_cmp_gt_i32_e64 s6, v7, v2
	s_delay_alu instid0(VALU_DEP_4) | instskip(NEXT) | instid1(VALU_DEP_1)
	s_and_not1_b32 s58, s58, exec_lo
	s_and_b32 s6, vcc_lo, s6
	s_delay_alu instid0(SALU_CYCLE_1) | instskip(NEXT) | instid1(SALU_CYCLE_1)
	s_and_b32 s6, s6, exec_lo
	s_or_b32 s58, s58, s6
.LBB4_138:                              ;   in Loop: Header=BB4_6 Depth=1
	s_or_b32 exec_lo, exec_lo, s59
	s_delay_alu instid0(VALU_DEP_2)
	s_and_saveexec_b32 s6, s58
	s_cbranch_execz .LBB4_140
; %bb.139:                              ;   in Loop: Header=BB4_6 Depth=1
	v_mov_b32_e32 v3, v15
	s_waitcnt lgkmcnt(0)
	v_dual_mov_b32 v7, v2 :: v_dual_mov_b32 v4, v16
	ds_store_b64 v28, v[15:16]
	ds_store_b32 v29, v2
.LBB4_140:                              ;   in Loop: Header=BB4_6 Depth=1
	s_or_b32 exec_lo, exec_lo, s6
.LBB4_141:                              ;   in Loop: Header=BB4_6 Depth=1
	s_delay_alu instid0(SALU_CYCLE_1)
	s_or_b32 exec_lo, exec_lo, s7
	s_waitcnt lgkmcnt(0)
	s_barrier
	buffer_gl0_inv
	s_and_saveexec_b32 s58, s3
	s_cbranch_execz .LBB4_164
; %bb.142:                              ;   in Loop: Header=BB4_6 Depth=1
	ds_load_b64 v[15:16], v28 offset:256
	ds_load_b32 v2, v29 offset:128
	s_mov_b32 s59, exec_lo
	s_waitcnt lgkmcnt(1)
	v_cmp_lt_f64_e64 s7, v[3:4], v[15:16]
	v_cmpx_nlt_f64_e32 v[3:4], v[15:16]
	s_cbranch_execz .LBB4_144
; %bb.143:                              ;   in Loop: Header=BB4_6 Depth=1
	v_cmp_eq_f64_e32 vcc_lo, v[3:4], v[15:16]
	s_waitcnt lgkmcnt(0)
	v_cmp_gt_i32_e64 s6, v7, v2
	s_delay_alu instid0(VALU_DEP_4) | instskip(NEXT) | instid1(VALU_DEP_1)
	s_and_not1_b32 s7, s7, exec_lo
	s_and_b32 s6, vcc_lo, s6
	s_delay_alu instid0(SALU_CYCLE_1) | instskip(NEXT) | instid1(SALU_CYCLE_1)
	s_and_b32 s6, s6, exec_lo
	s_or_b32 s7, s7, s6
.LBB4_144:                              ;   in Loop: Header=BB4_6 Depth=1
	s_or_b32 exec_lo, exec_lo, s59
	s_delay_alu instid0(VALU_DEP_2)
	s_and_saveexec_b32 s6, s7
	s_cbranch_execz .LBB4_146
; %bb.145:                              ;   in Loop: Header=BB4_6 Depth=1
	v_dual_mov_b32 v3, v15 :: v_dual_mov_b32 v4, v16
	s_waitcnt lgkmcnt(0)
	v_mov_b32_e32 v7, v2
	ds_store_b64 v28, v[15:16]
	ds_store_b32 v29, v2
.LBB4_146:                              ;   in Loop: Header=BB4_6 Depth=1
	s_or_b32 exec_lo, exec_lo, s6
	ds_load_b64 v[15:16], v28 offset:128
	s_waitcnt lgkmcnt(1)
	ds_load_b32 v2, v29 offset:64
	s_mov_b32 s59, exec_lo
	s_waitcnt lgkmcnt(1)
	v_cmp_lt_f64_e64 s7, v[3:4], v[15:16]
	v_cmpx_nlt_f64_e32 v[3:4], v[15:16]
	s_cbranch_execz .LBB4_148
; %bb.147:                              ;   in Loop: Header=BB4_6 Depth=1
	v_cmp_eq_f64_e32 vcc_lo, v[3:4], v[15:16]
	s_waitcnt lgkmcnt(0)
	v_cmp_gt_i32_e64 s6, v7, v2
	s_delay_alu instid0(VALU_DEP_4) | instskip(NEXT) | instid1(VALU_DEP_1)
	s_and_not1_b32 s7, s7, exec_lo
	s_and_b32 s6, vcc_lo, s6
	s_delay_alu instid0(SALU_CYCLE_1) | instskip(NEXT) | instid1(SALU_CYCLE_1)
	s_and_b32 s6, s6, exec_lo
	s_or_b32 s7, s7, s6
.LBB4_148:                              ;   in Loop: Header=BB4_6 Depth=1
	s_or_b32 exec_lo, exec_lo, s59
	s_delay_alu instid0(VALU_DEP_2)
	s_and_saveexec_b32 s6, s7
	s_cbranch_execz .LBB4_150
; %bb.149:                              ;   in Loop: Header=BB4_6 Depth=1
	v_dual_mov_b32 v3, v15 :: v_dual_mov_b32 v4, v16
	s_waitcnt lgkmcnt(0)
	v_mov_b32_e32 v7, v2
	ds_store_b64 v28, v[15:16]
	ds_store_b32 v29, v2
.LBB4_150:                              ;   in Loop: Header=BB4_6 Depth=1
	s_or_b32 exec_lo, exec_lo, s6
	ds_load_b64 v[15:16], v28 offset:64
	s_waitcnt lgkmcnt(1)
	;; [unrolled: 31-line block ×5, first 2 shown]
	ds_load_b32 v2, v29 offset:4
	s_waitcnt lgkmcnt(1)
	v_cmp_eq_f64_e32 vcc_lo, v[3:4], v[15:16]
	v_cmp_lt_f64_e64 s6, v[3:4], v[15:16]
	s_waitcnt lgkmcnt(0)
	v_cmp_gt_i32_e64 s7, v7, v2
	s_delay_alu instid0(VALU_DEP_1)
	s_and_b32 s7, vcc_lo, s7
	s_delay_alu instid0(VALU_DEP_2) | instid1(SALU_CYCLE_1)
	s_or_b32 s6, s6, s7
	s_delay_alu instid0(SALU_CYCLE_1)
	s_and_b32 exec_lo, exec_lo, s6
	s_cbranch_execz .LBB4_164
; %bb.163:                              ;   in Loop: Header=BB4_6 Depth=1
	ds_store_b64 v28, v[15:16]
	ds_store_b32 v29, v2
.LBB4_164:                              ;   in Loop: Header=BB4_6 Depth=1
	s_or_b32 exec_lo, exec_lo, s58
.LBB4_165:                              ;   in Loop: Header=BB4_6 Depth=1
	s_and_saveexec_b32 s6, s2
	s_cbranch_execz .LBB4_167
; %bb.166:                              ;   in Loop: Header=BB4_6 Depth=1
	ds_load_b64 v[2:3], v8 offset:3088
	ds_load_b64 v[15:16], v8
	s_waitcnt lgkmcnt(0)
	v_cmp_lt_f64_e32 vcc_lo, v[2:3], v[15:16]
	v_dual_cndmask_b32 v3, v3, v16 :: v_dual_cndmask_b32 v2, v2, v15
	ds_store_b64 v8, v[2:3] offset:3088
.LBB4_167:                              ;   in Loop: Header=BB4_6 Depth=1
	s_or_b32 exec_lo, exec_lo, s6
.LBB4_168:                              ;   in Loop: Header=BB4_6 Depth=1
	s_waitcnt lgkmcnt(0)
	s_barrier
	buffer_gl0_inv
	ds_load_b128 v[15:18], v8 offset:3072
	ds_load_b64 v[3:4], v8 offset:3088
	s_waitcnt lgkmcnt(0)
	v_div_scale_f64 v[19:20], null, v[3:4], v[3:4], v[17:18]
	s_delay_alu instid0(VALU_DEP_1) | instskip(SKIP_2) | instid1(VALU_DEP_1)
	v_rcp_f64_e32 v[21:22], v[19:20]
	s_waitcnt_depctr 0xfff
	v_fma_f64 v[25:26], -v[19:20], v[21:22], 1.0
	v_fma_f64 v[21:22], v[21:22], v[25:26], v[21:22]
	s_delay_alu instid0(VALU_DEP_1) | instskip(NEXT) | instid1(VALU_DEP_1)
	v_fma_f64 v[25:26], -v[19:20], v[21:22], 1.0
	v_fma_f64 v[21:22], v[21:22], v[25:26], v[21:22]
	v_div_scale_f64 v[25:26], vcc_lo, v[17:18], v[3:4], v[17:18]
	s_delay_alu instid0(VALU_DEP_1) | instskip(NEXT) | instid1(VALU_DEP_1)
	v_mul_f64 v[42:43], v[25:26], v[21:22]
	v_fma_f64 v[19:20], -v[19:20], v[42:43], v[25:26]
	s_delay_alu instid0(VALU_DEP_1) | instskip(SKIP_1) | instid1(VALU_DEP_2)
	v_div_fmas_f64 v[19:20], v[19:20], v[21:22], v[42:43]
	v_mul_f64 v[21:22], v[17:18], s[38:39]
	v_div_fixup_f64 v[17:18], v[19:20], v[3:4], v[17:18]
	s_delay_alu instid0(VALU_DEP_1) | instskip(NEXT) | instid1(VALU_DEP_1)
	v_mul_f64 v[17:18], v[21:22], v[17:18]
	v_cmp_ge_f64_e32 vcc_lo, v[15:16], v[17:18]
	s_cbranch_vccnz .LBB4_175
; %bb.169:                              ;   in Loop: Header=BB4_6 Depth=1
	ds_load_b32 v2, v8 offset:3096
	v_mul_f64 v[3:4], v[3:4], s[38:39]
	v_mov_b32_e32 v7, 2
	s_mov_b32 s58, 0
	s_mov_b32 s6, exec_lo
	s_waitcnt lgkmcnt(0)
	v_add_nc_u32_e32 v15, v2, v1
	s_delay_alu instid0(VALU_DEP_1) | instskip(NEXT) | instid1(VALU_DEP_1)
	v_ashrrev_i32_e32 v16, 31, v15
	v_lshlrev_b64 v[15:16], 3, v[15:16]
	s_delay_alu instid0(VALU_DEP_1) | instskip(NEXT) | instid1(VALU_DEP_2)
	v_add_co_u32 v15, vcc_lo, s20, v15
	v_add_co_ci_u32_e32 v16, vcc_lo, s21, v16, vcc_lo
	global_load_b64 v[15:16], v[15:16], off
	s_waitcnt vmcnt(0)
	v_cmpx_ge_f64_e64 |v[15:16]|, v[3:4]
	s_cbranch_execz .LBB4_174
; %bb.170:                              ;   in Loop: Header=BB4_6 Depth=1
	s_and_saveexec_b32 s7, s5
	s_cbranch_execz .LBB4_173
; %bb.171:                              ;   in Loop: Header=BB4_6 Depth=1
	v_add3_u32 v3, v0, v9, v5
	v_add3_u32 v15, v0, v1, v5
	v_mov_b32_e32 v1, v0
	s_delay_alu instid0(VALU_DEP_3) | instskip(NEXT) | instid1(VALU_DEP_3)
	v_ashrrev_i32_e32 v4, 31, v3
	v_ashrrev_i32_e32 v16, 31, v15
	s_delay_alu instid0(VALU_DEP_2) | instskip(NEXT) | instid1(VALU_DEP_2)
	v_lshlrev_b64 v[3:4], 3, v[3:4]
	v_lshlrev_b64 v[15:16], 3, v[15:16]
	s_delay_alu instid0(VALU_DEP_2) | instskip(NEXT) | instid1(VALU_DEP_3)
	v_add_co_u32 v3, vcc_lo, s52, v3
	v_add_co_ci_u32_e32 v4, vcc_lo, s53, v4, vcc_lo
	s_delay_alu instid0(VALU_DEP_3) | instskip(NEXT) | instid1(VALU_DEP_4)
	v_add_co_u32 v15, vcc_lo, s52, v15
	v_add_co_ci_u32_e32 v16, vcc_lo, s53, v16, vcc_lo
	.p2align	6
.LBB4_172:                              ;   Parent Loop BB4_6 Depth=1
                                        ; =>  This Inner Loop Header: Depth=2
	global_load_b64 v[17:18], v[15:16], off
	v_add_nc_u32_e32 v1, 0x100, v1
	v_add_co_u32 v15, vcc_lo, 0x800, v15
	v_add_co_ci_u32_e32 v16, vcc_lo, 0, v16, vcc_lo
	s_delay_alu instid0(VALU_DEP_3) | instskip(SKIP_4) | instid1(VALU_DEP_1)
	v_cmp_ge_i32_e32 vcc_lo, v1, v24
	s_or_b32 s58, vcc_lo, s58
	s_waitcnt vmcnt(0)
	global_store_b64 v[3:4], v[17:18], off
	v_add_co_u32 v3, s5, 0x800, v3
	v_add_co_ci_u32_e64 v4, s5, 0, v4, s5
	s_and_not1_b32 exec_lo, exec_lo, s58
	s_cbranch_execnz .LBB4_172
.LBB4_173:                              ;   in Loop: Header=BB4_6 Depth=1
	s_or_b32 exec_lo, exec_lo, s7
	v_mov_b32_e32 v7, 1
	s_mov_b32 s58, exec_lo
	s_waitcnt_vscnt null, 0x0
	s_barrier
	buffer_gl0_inv
.LBB4_174:                              ;   in Loop: Header=BB4_6 Depth=1
	s_or_b32 exec_lo, exec_lo, s6
	s_branch .LBB4_176
.LBB4_175:                              ;   in Loop: Header=BB4_6 Depth=1
	v_dual_mov_b32 v7, 1 :: v_dual_mov_b32 v2, v5
	s_mov_b32 s58, -1
.LBB4_176:                              ;   in Loop: Header=BB4_6 Depth=1
	s_delay_alu instid0(VALU_DEP_1) | instskip(SKIP_1) | instid1(VALU_DEP_1)
	v_add_nc_u32_e32 v1, v7, v5
	s_mov_b32 s59, exec_lo
	v_add_nc_u32_e32 v10, -1, v1
	s_delay_alu instid0(VALU_DEP_1)
	v_cmpx_ne_u32_e64 v2, v10
	s_cbranch_execz .LBB4_192
; %bb.177:                              ;   in Loop: Header=BB4_6 Depth=1
	s_and_saveexec_b32 s5, s2
	s_cbranch_execz .LBB4_179
; %bb.178:                              ;   in Loop: Header=BB4_6 Depth=1
	v_mul_lo_u32 v3, v10, s47
	v_mul_lo_u32 v15, v2, s47
	s_delay_alu instid0(VALU_DEP_2) | instskip(NEXT) | instid1(VALU_DEP_2)
	v_ashrrev_i32_e32 v4, 31, v3
	v_ashrrev_i32_e32 v16, 31, v15
	s_delay_alu instid0(VALU_DEP_2) | instskip(NEXT) | instid1(VALU_DEP_2)
	v_lshlrev_b64 v[3:4], 3, v[3:4]
	v_lshlrev_b64 v[15:16], 3, v[15:16]
	s_delay_alu instid0(VALU_DEP_2) | instskip(NEXT) | instid1(VALU_DEP_3)
	v_add_co_u32 v3, vcc_lo, s16, v3
	v_add_co_ci_u32_e32 v4, vcc_lo, s33, v4, vcc_lo
	s_delay_alu instid0(VALU_DEP_3) | instskip(NEXT) | instid1(VALU_DEP_4)
	v_add_co_u32 v15, vcc_lo, s16, v15
	v_add_co_ci_u32_e32 v16, vcc_lo, s33, v16, vcc_lo
	global_load_b64 v[3:4], v[3:4], off
	s_waitcnt vmcnt(0)
	global_store_b64 v[15:16], v[3:4], off
.LBB4_179:                              ;   in Loop: Header=BB4_6 Depth=1
	s_or_b32 exec_lo, exec_lo, s5
	v_sub_nc_u32_e32 v17, v2, v1
	s_mov_b32 s6, exec_lo
	s_delay_alu instid0(VALU_DEP_1)
	v_cmpx_gt_i32_e64 v17, v0
	s_cbranch_execz .LBB4_182
; %bb.180:                              ;   in Loop: Header=BB4_6 Depth=1
	v_add3_u32 v15, v0, v7, v5
	s_mov_b32 s7, 0
	s_delay_alu instid0(VALU_DEP_1)
	v_mad_u64_u32 v[3:4], null, s17, v15, v[2:3]
	v_mad_u64_u32 v[15:16], null, v10, s17, v[1:2]
	v_mov_b32_e32 v16, v0
	.p2align	6
.LBB4_181:                              ;   Parent Loop BB4_6 Depth=1
                                        ; =>  This Inner Loop Header: Depth=2
	s_delay_alu instid0(VALU_DEP_1) | instskip(NEXT) | instid1(VALU_DEP_4)
	v_add_nc_u32_e32 v18, v15, v16
	v_ashrrev_i32_e32 v4, 31, v3
	v_add_nc_u32_e32 v16, 0x100, v16
	s_delay_alu instid0(VALU_DEP_3) | instskip(NEXT) | instid1(VALU_DEP_3)
	v_ashrrev_i32_e32 v19, 31, v18
	v_lshlrev_b64 v[20:21], 3, v[3:4]
	v_add_nc_u32_e32 v3, s8, v3
	s_delay_alu instid0(VALU_DEP_3) | instskip(NEXT) | instid1(VALU_DEP_3)
	v_lshlrev_b64 v[18:19], 3, v[18:19]
	v_add_co_u32 v20, s5, s16, v20
	s_delay_alu instid0(VALU_DEP_1) | instskip(NEXT) | instid1(VALU_DEP_3)
	v_add_co_ci_u32_e64 v21, s5, s33, v21, s5
	v_add_co_u32 v18, vcc_lo, s16, v18
	s_delay_alu instid0(VALU_DEP_4)
	v_add_co_ci_u32_e32 v19, vcc_lo, s33, v19, vcc_lo
	v_cmp_ge_i32_e32 vcc_lo, v16, v17
	global_load_b64 v[18:19], v[18:19], off
	s_or_b32 s7, vcc_lo, s7
	s_waitcnt vmcnt(0)
	global_store_b64 v[20:21], v[18:19], off
	s_and_not1_b32 exec_lo, exec_lo, s7
	s_cbranch_execnz .LBB4_181
.LBB4_182:                              ;   in Loop: Header=BB4_6 Depth=1
	s_or_b32 exec_lo, exec_lo, s6
	v_xad_u32 v15, v2, -1, s18
	s_mov_b32 s6, exec_lo
	s_delay_alu instid0(VALU_DEP_1)
	v_cmpx_gt_i32_e64 v15, v0
	s_cbranch_execz .LBB4_185
; %bb.183:                              ;   in Loop: Header=BB4_6 Depth=1
	v_mul_lo_u32 v10, v10, s17
	v_mad_u64_u32 v[3:4], null, s47, v2, 1
	s_mov_b32 s7, 0
	s_delay_alu instid0(VALU_DEP_2)
	v_add3_u32 v4, v2, v10, 1
	v_mov_b32_e32 v10, v0
	.p2align	6
.LBB4_184:                              ;   Parent Loop BB4_6 Depth=1
                                        ; =>  This Inner Loop Header: Depth=2
	s_delay_alu instid0(VALU_DEP_1) | instskip(NEXT) | instid1(VALU_DEP_4)
	v_add_nc_u32_e32 v16, v4, v10
	v_add_nc_u32_e32 v18, v3, v10
	;; [unrolled: 1-line block ×3, first 2 shown]
	s_delay_alu instid0(VALU_DEP_3) | instskip(NEXT) | instid1(VALU_DEP_3)
	v_ashrrev_i32_e32 v17, 31, v16
	v_ashrrev_i32_e32 v19, 31, v18
	s_delay_alu instid0(VALU_DEP_2) | instskip(NEXT) | instid1(VALU_DEP_2)
	v_lshlrev_b64 v[16:17], 3, v[16:17]
	v_lshlrev_b64 v[18:19], 3, v[18:19]
	s_delay_alu instid0(VALU_DEP_2) | instskip(NEXT) | instid1(VALU_DEP_3)
	v_add_co_u32 v16, vcc_lo, s16, v16
	v_add_co_ci_u32_e32 v17, vcc_lo, s33, v17, vcc_lo
	v_cmp_ge_i32_e32 vcc_lo, v10, v15
	s_delay_alu instid0(VALU_DEP_4)
	v_add_co_u32 v18, s5, s16, v18
	global_load_b64 v[16:17], v[16:17], off
	v_add_co_ci_u32_e64 v19, s5, s33, v19, s5
	s_or_b32 s7, vcc_lo, s7
	s_waitcnt vmcnt(0)
	global_store_b64 v[18:19], v[16:17], off
	s_and_not1_b32 exec_lo, exec_lo, s7
	s_cbranch_execnz .LBB4_184
.LBB4_185:                              ;   in Loop: Header=BB4_6 Depth=1
	s_or_b32 exec_lo, exec_lo, s6
	s_delay_alu instid0(SALU_CYCLE_1)
	s_mov_b32 s5, exec_lo
	s_waitcnt_vscnt null, 0x0
	s_barrier
	buffer_gl0_inv
	v_cmpx_gt_u32_e64 v5, v0
	s_cbranch_execz .LBB4_188
; %bb.186:                              ;   in Loop: Header=BB4_6 Depth=1
	v_ashrrev_i32_e32 v3, 31, v1
	v_mov_b32_e32 v4, v38
	v_mov_b32_e32 v10, v0
	s_mov_b32 s6, 0
	.p2align	6
.LBB4_187:                              ;   Parent Loop BB4_6 Depth=1
                                        ; =>  This Inner Loop Header: Depth=2
	s_delay_alu instid0(VALU_DEP_2) | instskip(SKIP_3) | instid1(VALU_DEP_4)
	v_add_nc_u32_e32 v15, v2, v4
	v_ashrrev_i32_e32 v18, 31, v4
	v_add_co_u32 v17, vcc_lo, v4, v1
	v_add_nc_u32_e32 v10, 0x100, v10
	v_ashrrev_i32_e32 v16, 31, v15
	s_delay_alu instid0(VALU_DEP_4) | instskip(SKIP_1) | instid1(VALU_DEP_3)
	v_add_co_ci_u32_e32 v18, vcc_lo, v18, v3, vcc_lo
	v_add_nc_u32_e32 v4, s8, v4
	v_lshlrev_b64 v[15:16], 3, v[15:16]
	s_delay_alu instid0(VALU_DEP_3) | instskip(NEXT) | instid1(VALU_DEP_2)
	v_lshlrev_b64 v[17:18], 3, v[17:18]
	v_add_co_u32 v15, vcc_lo, s16, v15
	s_delay_alu instid0(VALU_DEP_3) | instskip(NEXT) | instid1(VALU_DEP_3)
	v_add_co_ci_u32_e32 v16, vcc_lo, s33, v16, vcc_lo
	v_add_co_u32 v17, vcc_lo, s50, v17
	s_delay_alu instid0(VALU_DEP_4)
	v_add_co_ci_u32_e32 v18, vcc_lo, s51, v18, vcc_lo
	v_cmp_ge_u32_e32 vcc_lo, v10, v5
	s_clause 0x1
	global_load_b64 v[19:20], v[15:16], off
	global_load_b64 v[21:22], v[17:18], off
	s_waitcnt vmcnt(1)
	global_store_b64 v[17:18], v[19:20], off
	s_waitcnt vmcnt(0)
	global_store_b64 v[15:16], v[21:22], off
	s_or_b32 s6, vcc_lo, s6
	s_delay_alu instid0(SALU_CYCLE_1)
	s_and_not1_b32 exec_lo, exec_lo, s6
	s_cbranch_execnz .LBB4_187
.LBB4_188:                              ;   in Loop: Header=BB4_6 Depth=1
	s_or_b32 exec_lo, exec_lo, s5
	v_cmp_gt_u32_e32 vcc_lo, v1, v0
	s_and_b32 exec_lo, exec_lo, vcc_lo
	s_cbranch_execz .LBB4_191
; %bb.189:                              ;   in Loop: Header=BB4_6 Depth=1
	v_add_co_u32 v4, vcc_lo, v33, v7
	v_add_co_ci_u32_e32 v7, vcc_lo, 0, v39, vcc_lo
	v_add_nc_u32_e32 v3, v33, v2
	s_delay_alu instid0(VALU_DEP_3) | instskip(NEXT) | instid1(VALU_DEP_3)
	v_add_co_u32 v15, vcc_lo, v4, v5
	v_add_co_ci_u32_e32 v16, vcc_lo, 0, v7, vcc_lo
	s_delay_alu instid0(VALU_DEP_3) | instskip(SKIP_2) | instid1(VALU_DEP_2)
	v_ashrrev_i32_e32 v4, 31, v3
	s_mov_b32 s5, 0
	s_mov_b64 s[6:7], s[20:21]
	v_lshlrev_b64 v[15:16], 3, v[15:16]
	s_delay_alu instid0(VALU_DEP_2) | instskip(NEXT) | instid1(VALU_DEP_2)
	v_lshlrev_b64 v[3:4], 3, v[3:4]
	v_add_co_u32 v7, vcc_lo, v15, -8
	s_delay_alu instid0(VALU_DEP_3)
	v_add_co_ci_u32_e32 v10, vcc_lo, -1, v16, vcc_lo
	v_mov_b32_e32 v15, v0
	.p2align	6
.LBB4_190:                              ;   Parent Loop BB4_6 Depth=1
                                        ; =>  This Inner Loop Header: Depth=2
	s_delay_alu instid0(VALU_DEP_4)
	v_add_co_u32 v16, vcc_lo, s6, v3
	v_add_co_ci_u32_e32 v17, vcc_lo, s7, v4, vcc_lo
	v_add_co_u32 v18, vcc_lo, s6, v7
	v_add_co_ci_u32_e32 v19, vcc_lo, s7, v10, vcc_lo
	v_add_nc_u32_e32 v15, 0x100, v15
	s_clause 0x1
	global_load_b64 v[20:21], v[16:17], off
	global_load_b64 v[24:25], v[18:19], off
	s_add_u32 s6, s6, s40
	s_addc_u32 s7, s7, s41
	v_cmp_ge_u32_e32 vcc_lo, v15, v1
	s_waitcnt vmcnt(1)
	global_store_b64 v[18:19], v[20:21], off
	s_waitcnt vmcnt(0)
	global_store_b64 v[16:17], v[24:25], off
	s_or_b32 s5, vcc_lo, s5
	s_delay_alu instid0(SALU_CYCLE_1)
	s_and_not1_b32 exec_lo, exec_lo, s5
	s_cbranch_execnz .LBB4_190
.LBB4_191:                              ;   in Loop: Header=BB4_6 Depth=1
	s_waitcnt_vscnt null, 0x0
	s_barrier
	buffer_gl0_inv
.LBB4_192:                              ;   in Loop: Header=BB4_6 Depth=1
	s_or_b32 exec_lo, exec_lo, s59
	s_xor_b32 s6, s58, -1
                                        ; implicit-def: $sgpr7
                                        ; implicit-def: $sgpr5
	s_delay_alu instid0(SALU_CYCLE_1) | instskip(NEXT) | instid1(SALU_CYCLE_1)
	s_and_saveexec_b32 s58, s6
	s_xor_b32 s6, exec_lo, s58
	s_cbranch_execz .LBB4_200
; %bb.193:                              ;   in Loop: Header=BB4_6 Depth=1
	s_mov_b32 s7, exec_lo
	v_cmpx_gt_i32_e64 s48, v5
	s_cbranch_execz .LBB4_197
; %bb.194:                              ;   in Loop: Header=BB4_6 Depth=1
	v_add_nc_u32_e32 v1, v5, v30
	s_delay_alu instid0(VALU_DEP_1)
	v_cmp_gt_i32_e32 vcc_lo, s18, v1
	s_and_b32 exec_lo, exec_lo, vcc_lo
	s_cbranch_execz .LBB4_197
; %bb.195:                              ;   in Loop: Header=BB4_6 Depth=1
	v_mul_lo_u32 v7, v41, s18
	v_add_nc_u32_e32 v15, v9, v41
	v_mul_lo_u32 v10, s47, v5
	s_mov_b32 s58, 0
	s_delay_alu instid0(VALU_DEP_2) | instskip(NEXT) | instid1(VALU_DEP_4)
	v_ashrrev_i32_e32 v16, 31, v15
	v_add_nc_u32_e32 v3, v7, v41
	s_delay_alu instid0(VALU_DEP_2) | instskip(NEXT) | instid1(VALU_DEP_2)
	v_lshlrev_b64 v[15:16], 3, v[15:16]
	v_ashrrev_i32_e32 v4, 31, v3
	s_delay_alu instid0(VALU_DEP_1) | instskip(NEXT) | instid1(VALU_DEP_1)
	v_lshlrev_b64 v[3:4], 3, v[3:4]
	v_add_co_u32 v3, vcc_lo, s20, v3
	s_delay_alu instid0(VALU_DEP_2)
	v_add_co_ci_u32_e32 v4, vcc_lo, s21, v4, vcc_lo
	v_add_co_u32 v15, vcc_lo, s20, v15
	v_add_co_ci_u32_e32 v16, vcc_lo, s21, v16, vcc_lo
	s_clause 0x2
	global_load_b64 v[3:4], v[3:4], off
	global_load_b64 v[17:18], v[15:16], off
	;; [unrolled: 1-line block ×3, first 2 shown]
	s_waitcnt vmcnt(1)
	v_div_scale_f64 v[19:20], null, v[17:18], v[17:18], v[3:4]
	s_waitcnt vmcnt(0)
	v_div_scale_f64 v[21:22], null, v[17:18], v[17:18], v[15:16]
	v_div_scale_f64 v[46:47], vcc_lo, v[3:4], v[17:18], v[3:4]
	s_delay_alu instid0(VALU_DEP_3) | instskip(NEXT) | instid1(VALU_DEP_2)
	v_rcp_f64_e32 v[23:24], v[19:20]
	v_rcp_f64_e32 v[25:26], v[21:22]
	s_waitcnt_depctr 0xfff
	v_fma_f64 v[42:43], -v[19:20], v[23:24], 1.0
	v_fma_f64 v[44:45], -v[21:22], v[25:26], 1.0
	s_delay_alu instid0(VALU_DEP_2) | instskip(NEXT) | instid1(VALU_DEP_2)
	v_fma_f64 v[23:24], v[23:24], v[42:43], v[23:24]
	v_fma_f64 v[25:26], v[25:26], v[44:45], v[25:26]
	s_delay_alu instid0(VALU_DEP_2) | instskip(NEXT) | instid1(VALU_DEP_2)
	v_fma_f64 v[42:43], -v[19:20], v[23:24], 1.0
	v_fma_f64 v[44:45], -v[21:22], v[25:26], 1.0
	s_delay_alu instid0(VALU_DEP_2) | instskip(SKIP_1) | instid1(VALU_DEP_3)
	v_fma_f64 v[23:24], v[23:24], v[42:43], v[23:24]
	v_div_scale_f64 v[42:43], s5, v[15:16], v[17:18], v[15:16]
	v_fma_f64 v[25:26], v[25:26], v[44:45], v[25:26]
	s_delay_alu instid0(VALU_DEP_3) | instskip(NEXT) | instid1(VALU_DEP_2)
	v_mul_f64 v[44:45], v[46:47], v[23:24]
	v_mul_f64 v[48:49], v[42:43], v[25:26]
	s_delay_alu instid0(VALU_DEP_2) | instskip(NEXT) | instid1(VALU_DEP_2)
	v_fma_f64 v[19:20], -v[19:20], v[44:45], v[46:47]
	v_fma_f64 v[21:22], -v[21:22], v[48:49], v[42:43]
	s_delay_alu instid0(VALU_DEP_2) | instskip(SKIP_1) | instid1(VALU_DEP_2)
	v_div_fmas_f64 v[19:20], v[19:20], v[23:24], v[44:45]
	s_mov_b32 vcc_lo, s5
	v_div_fmas_f64 v[21:22], v[21:22], v[25:26], v[48:49]
	s_delay_alu instid0(VALU_DEP_2) | instskip(NEXT) | instid1(VALU_DEP_2)
	v_div_fixup_f64 v[3:4], v[19:20], v[17:18], v[3:4]
	v_div_fixup_f64 v[15:16], v[21:22], v[17:18], v[15:16]
	s_delay_alu instid0(VALU_DEP_1) | instskip(NEXT) | instid1(VALU_DEP_1)
	v_fma_f64 v[19:20], v[3:4], v[15:16], -1.0
	v_mul_f64 v[17:18], v[17:18], v[19:20]
	s_delay_alu instid0(VALU_DEP_1) | instskip(NEXT) | instid1(VALU_DEP_1)
	v_div_scale_f64 v[19:20], null, v[17:18], v[17:18], 1.0
	v_rcp_f64_e32 v[21:22], v[19:20]
	s_waitcnt_depctr 0xfff
	v_fma_f64 v[23:24], -v[19:20], v[21:22], 1.0
	s_delay_alu instid0(VALU_DEP_1) | instskip(NEXT) | instid1(VALU_DEP_1)
	v_fma_f64 v[21:22], v[21:22], v[23:24], v[21:22]
	v_fma_f64 v[23:24], -v[19:20], v[21:22], 1.0
	s_delay_alu instid0(VALU_DEP_1) | instskip(SKIP_1) | instid1(VALU_DEP_1)
	v_fma_f64 v[21:22], v[21:22], v[23:24], v[21:22]
	v_div_scale_f64 v[23:24], vcc_lo, 1.0, v[17:18], 1.0
	v_mul_f64 v[25:26], v[23:24], v[21:22]
	s_delay_alu instid0(VALU_DEP_1) | instskip(SKIP_1) | instid1(VALU_DEP_1)
	v_fma_f64 v[19:20], -v[19:20], v[25:26], v[23:24]
	v_add3_u32 v23, v30, v9, v5
	v_ashrrev_i32_e32 v24, 31, v23
	s_delay_alu instid0(VALU_DEP_3) | instskip(SKIP_1) | instid1(VALU_DEP_1)
	v_div_fmas_f64 v[19:20], v[19:20], v[21:22], v[25:26]
	v_add_nc_u32_e32 v21, v1, v7
	v_ashrrev_i32_e32 v22, 31, v21
	s_delay_alu instid0(VALU_DEP_1) | instskip(NEXT) | instid1(VALU_DEP_4)
	v_lshlrev_b64 v[42:43], 3, v[21:22]
	v_div_fixup_f64 v[17:18], v[19:20], v[17:18], 1.0
	v_add_nc_u32_e32 v19, v30, v10
	s_delay_alu instid0(VALU_DEP_1) | instskip(NEXT) | instid1(VALU_DEP_1)
	v_ashrrev_i32_e32 v20, 31, v19
	v_lshlrev_b64 v[25:26], 3, v[19:20]
	v_add_nc_u32_e32 v19, v40, v10
	s_delay_alu instid0(VALU_DEP_2) | instskip(NEXT) | instid1(VALU_DEP_3)
	v_add_co_u32 v21, vcc_lo, s54, v25
	v_add_co_ci_u32_e32 v22, vcc_lo, s55, v26, vcc_lo
	v_lshlrev_b64 v[25:26], 3, v[23:24]
	v_add_co_u32 v23, vcc_lo, s52, v42
	v_add_co_ci_u32_e32 v24, vcc_lo, s53, v43, vcc_lo
	s_delay_alu instid0(VALU_DEP_3) | instskip(NEXT) | instid1(VALU_DEP_4)
	v_add_co_u32 v25, vcc_lo, s52, v25
	v_add_co_ci_u32_e32 v26, vcc_lo, s53, v26, vcc_lo
.LBB4_196:                              ;   Parent Loop BB4_6 Depth=1
                                        ; =>  This Inner Loop Header: Depth=2
	global_load_b64 v[42:43], v[25:26], off
	global_load_b64 v[44:45], v[23:24], off
	v_ashrrev_i32_e32 v20, 31, v19
	v_add_nc_u32_e32 v1, 0x100, v1
	s_delay_alu instid0(VALU_DEP_1) | instskip(SKIP_3) | instid1(VALU_DEP_1)
	v_cmp_le_i32_e32 vcc_lo, s18, v1
	s_or_b32 s58, vcc_lo, s58
	s_waitcnt vmcnt(0)
	v_fma_f64 v[42:43], v[3:4], v[42:43], -v[44:45]
	v_mul_f64 v[42:43], v[17:18], v[42:43]
	global_store_b64 v[21:22], v[42:43], off
	global_load_b64 v[42:43], v[23:24], off
	global_load_b64 v[44:45], v[25:26], off
	s_waitcnt vmcnt(0)
	v_fma_f64 v[42:43], v[15:16], v[42:43], -v[44:45]
	v_lshlrev_b64 v[44:45], 3, v[19:20]
	v_add_nc_u32_e32 v19, 0x100, v19
	s_delay_alu instid0(VALU_DEP_2) | instskip(NEXT) | instid1(VALU_DEP_1)
	v_add_co_u32 v44, s5, s16, v44
	v_add_co_ci_u32_e64 v45, s5, s33, v45, s5
	v_add_co_u32 v21, s5, 0x800, v21
	s_delay_alu instid0(VALU_DEP_1) | instskip(SKIP_1) | instid1(VALU_DEP_1)
	v_add_co_ci_u32_e64 v22, s5, 0, v22, s5
	v_add_co_u32 v23, s5, 0x800, v23
	v_add_co_ci_u32_e64 v24, s5, 0, v24, s5
	v_add_co_u32 v25, s5, 0x800, v25
	s_delay_alu instid0(VALU_DEP_1)
	v_add_co_ci_u32_e64 v26, s5, 0, v26, s5
	v_mul_f64 v[42:43], v[17:18], v[42:43]
	global_store_b64 v[44:45], v[42:43], off
	s_and_not1_b32 exec_lo, exec_lo, s58
	s_cbranch_execnz .LBB4_196
.LBB4_197:                              ;   in Loop: Header=BB4_6 Depth=1
	s_or_b32 exec_lo, exec_lo, s7
	s_and_saveexec_b32 s5, s2
	s_cbranch_execz .LBB4_199
; %bb.198:                              ;   in Loop: Header=BB4_6 Depth=1
	global_load_b64 v[3:4], v[11:12], off
	v_mul_lo_u32 v10, v5, s17
	v_add_nc_u32_e32 v15, v9, v41
	v_add_co_u32 v1, vcc_lo, s16, v13
	v_add_co_ci_u32_e32 v7, vcc_lo, s33, v14, vcc_lo
	s_delay_alu instid0(VALU_DEP_3) | instskip(SKIP_2) | instid1(VALU_DEP_3)
	v_ashrrev_i32_e32 v16, 31, v15
	v_ashrrev_i32_e32 v11, 31, v10
	v_add_nc_u32_e32 v9, v41, v10
	v_lshlrev_b64 v[13:14], 3, v[15:16]
	s_delay_alu instid0(VALU_DEP_3) | instskip(NEXT) | instid1(VALU_DEP_3)
	v_lshlrev_b64 v[11:12], 3, v[10:11]
	v_ashrrev_i32_e32 v10, 31, v9
	s_delay_alu instid0(VALU_DEP_1) | instskip(NEXT) | instid1(VALU_DEP_3)
	v_lshlrev_b64 v[9:10], 3, v[9:10]
	v_add_co_u32 v11, vcc_lo, v1, v11
	s_delay_alu instid0(VALU_DEP_4)
	v_add_co_ci_u32_e32 v12, vcc_lo, v7, v12, vcc_lo
	v_add_co_u32 v13, vcc_lo, s20, v13
	v_add_co_ci_u32_e32 v14, vcc_lo, s21, v14, vcc_lo
	v_add_co_u32 v9, vcc_lo, s16, v9
	v_add_co_ci_u32_e32 v10, vcc_lo, s33, v10, vcc_lo
	s_waitcnt vmcnt(0)
	global_store_b64 v[11:12], v[3:4], off
	global_load_b64 v[3:4], v[13:14], off
	v_mul_lo_u32 v11, v41, s49
	s_delay_alu instid0(VALU_DEP_1) | instskip(NEXT) | instid1(VALU_DEP_1)
	v_ashrrev_i32_e32 v12, 31, v11
	v_lshlrev_b64 v[11:12], 3, v[11:12]
	s_delay_alu instid0(VALU_DEP_1) | instskip(NEXT) | instid1(VALU_DEP_2)
	v_add_co_u32 v11, vcc_lo, s20, v11
	v_add_co_ci_u32_e32 v12, vcc_lo, s21, v12, vcc_lo
	s_waitcnt vmcnt(0)
	global_store_b64 v[9:10], v[3:4], off
	global_load_b64 v[3:4], v[11:12], off
	v_mul_lo_u32 v9, v41, s47
	s_delay_alu instid0(VALU_DEP_1) | instskip(NEXT) | instid1(VALU_DEP_1)
	v_ashrrev_i32_e32 v10, 31, v9
	v_lshlrev_b64 v[9:10], 3, v[9:10]
	s_delay_alu instid0(VALU_DEP_1) | instskip(NEXT) | instid1(VALU_DEP_2)
	v_add_co_u32 v9, vcc_lo, s16, v9
	v_add_co_ci_u32_e32 v10, vcc_lo, s33, v10, vcc_lo
	s_waitcnt vmcnt(0)
	global_store_b64 v[9:10], v[3:4], off
.LBB4_199:                              ;   in Loop: Header=BB4_6 Depth=1
	s_or_b32 exec_lo, exec_lo, s5
	s_mov_b32 s5, 0
	s_mov_b32 s7, 2
	s_waitcnt_vscnt null, 0x0
	s_barrier
	buffer_gl0_inv
                                        ; implicit-def: $vgpr11_vgpr12
                                        ; implicit-def: $vgpr23
                                        ; implicit-def: $vgpr9_vgpr10
.LBB4_200:                              ;   in Loop: Header=BB4_6 Depth=1
	s_or_saveexec_b32 s6, s6
	v_mov_b32_e32 v1, s7
	s_xor_b32 exec_lo, exec_lo, s6
	s_cbranch_execz .LBB4_207
; %bb.201:                              ;   in Loop: Header=BB4_6 Depth=1
	global_load_b64 v[3:4], v[11:12], off
	s_and_saveexec_b32 s7, s2
	s_cbranch_execz .LBB4_203
; %bb.202:                              ;   in Loop: Header=BB4_6 Depth=1
	v_mul_lo_u32 v10, v5, s47
	s_delay_alu instid0(VALU_DEP_1) | instskip(NEXT) | instid1(VALU_DEP_1)
	v_ashrrev_i32_e32 v11, 31, v10
	v_lshlrev_b64 v[10:11], 3, v[10:11]
	s_delay_alu instid0(VALU_DEP_1) | instskip(NEXT) | instid1(VALU_DEP_2)
	v_add_co_u32 v10, vcc_lo, s16, v10
	v_add_co_ci_u32_e32 v11, vcc_lo, s33, v11, vcc_lo
	s_waitcnt vmcnt(0)
	global_store_b64 v[10:11], v[3:4], off
.LBB4_203:                              ;   in Loop: Header=BB4_6 Depth=1
	s_or_b32 exec_lo, exec_lo, s7
	s_and_saveexec_b32 s7, s4
	s_cbranch_execz .LBB4_206
; %bb.204:                              ;   in Loop: Header=BB4_6 Depth=1
	s_waitcnt vmcnt(0)
	v_div_scale_f64 v[10:11], null, v[3:4], v[3:4], 1.0
	v_add3_u32 v1, v9, v5, 1
	v_mov_b32_e32 v7, v0
	s_mov_b32 s58, 0
	s_delay_alu instid0(VALU_DEP_3) | instskip(SKIP_2) | instid1(VALU_DEP_1)
	v_rcp_f64_e32 v[12:13], v[10:11]
	s_waitcnt_depctr 0xfff
	v_fma_f64 v[14:15], -v[10:11], v[12:13], 1.0
	v_fma_f64 v[12:13], v[12:13], v[14:15], v[12:13]
	s_delay_alu instid0(VALU_DEP_1) | instskip(NEXT) | instid1(VALU_DEP_1)
	v_fma_f64 v[14:15], -v[10:11], v[12:13], 1.0
	v_fma_f64 v[12:13], v[12:13], v[14:15], v[12:13]
	v_div_scale_f64 v[14:15], vcc_lo, 1.0, v[3:4], 1.0
	s_delay_alu instid0(VALU_DEP_1) | instskip(NEXT) | instid1(VALU_DEP_1)
	v_mul_f64 v[16:17], v[14:15], v[12:13]
	v_fma_f64 v[10:11], -v[10:11], v[16:17], v[14:15]
	s_delay_alu instid0(VALU_DEP_1) | instskip(NEXT) | instid1(VALU_DEP_1)
	v_div_fmas_f64 v[10:11], v[10:11], v[12:13], v[16:17]
	v_div_fixup_f64 v[3:4], v[10:11], v[3:4], 1.0
	v_mad_u64_u32 v[10:11], null, s47, v5, 1
	.p2align	6
.LBB4_205:                              ;   Parent Loop BB4_6 Depth=1
                                        ; =>  This Inner Loop Header: Depth=2
	v_add_nc_u32_e32 v11, v1, v7
	s_delay_alu instid0(VALU_DEP_2) | instskip(SKIP_1) | instid1(VALU_DEP_3)
	v_add_nc_u32_e32 v13, v10, v7
	v_add_nc_u32_e32 v7, 0x100, v7
	v_ashrrev_i32_e32 v12, 31, v11
	s_delay_alu instid0(VALU_DEP_3) | instskip(NEXT) | instid1(VALU_DEP_2)
	v_ashrrev_i32_e32 v14, 31, v13
	v_lshlrev_b64 v[11:12], 3, v[11:12]
	s_delay_alu instid0(VALU_DEP_2) | instskip(NEXT) | instid1(VALU_DEP_2)
	v_lshlrev_b64 v[13:14], 3, v[13:14]
	v_add_co_u32 v11, vcc_lo, s20, v11
	s_delay_alu instid0(VALU_DEP_3) | instskip(SKIP_1) | instid1(VALU_DEP_4)
	v_add_co_ci_u32_e32 v12, vcc_lo, s21, v12, vcc_lo
	v_cmp_ge_i32_e32 vcc_lo, v7, v23
	v_add_co_u32 v13, s4, s16, v13
	global_load_b64 v[11:12], v[11:12], off
	v_add_co_ci_u32_e64 v14, s4, s33, v14, s4
	s_or_b32 s58, vcc_lo, s58
	s_waitcnt vmcnt(0)
	v_mul_f64 v[11:12], v[3:4], v[11:12]
	global_store_b64 v[13:14], v[11:12], off
	s_and_not1_b32 exec_lo, exec_lo, s58
	s_cbranch_execnz .LBB4_205
.LBB4_206:                              ;   in Loop: Header=BB4_6 Depth=1
	s_or_b32 exec_lo, exec_lo, s7
	v_mov_b32_e32 v1, 1
	s_or_b32 s5, s5, exec_lo
	s_waitcnt vmcnt(0)
	s_waitcnt_vscnt null, 0x0
	s_barrier
	buffer_gl0_inv
.LBB4_207:                              ;   in Loop: Header=BB4_6 Depth=1
	s_or_b32 exec_lo, exec_lo, s6
	s_branch .LBB4_211
.LBB4_208:                              ;   in Loop: Header=BB4_6 Depth=1
	ds_load_b32 v1, v8 offset:3100
	s_waitcnt lgkmcnt(0)
	v_readfirstlane_b32 s4, v1
	s_delay_alu instid0(VALU_DEP_1) | instskip(SKIP_1) | instid1(SALU_CYCLE_1)
	s_cmp_eq_u32 s4, 0
	s_cselect_b32 s4, -1, 0
	s_and_b32 s5, s2, s4
	s_delay_alu instid0(SALU_CYCLE_1)
	s_and_saveexec_b32 s4, s5
	s_cbranch_execz .LBB4_210
; %bb.209:                              ;   in Loop: Header=BB4_6 Depth=1
	ds_store_b32 v8, v41 offset:3100
.LBB4_210:                              ;   in Loop: Header=BB4_6 Depth=1
	s_or_b32 exec_lo, exec_lo, s4
	v_dual_mov_b32 v1, 1 :: v_dual_mov_b32 v2, v5
	s_mov_b32 s5, -1
.LBB4_211:                              ;   in Loop: Header=BB4_6 Depth=1
	s_and_saveexec_b32 s4, s2
	s_cbranch_execz .LBB4_4
; %bb.212:                              ;   in Loop: Header=BB4_6 Depth=1
	v_lshlrev_b64 v[3:4], 2, v[5:6]
	s_xor_b32 s5, s5, -1
	s_delay_alu instid0(VALU_DEP_1) | instskip(NEXT) | instid1(VALU_DEP_2)
	v_add_co_u32 v3, vcc_lo, s42, v3
	v_add_co_ci_u32_e32 v4, vcc_lo, s43, v4, vcc_lo
	s_and_saveexec_b32 s6, s5
	s_delay_alu instid0(SALU_CYCLE_1)
	s_xor_b32 s5, exec_lo, s6
	s_cbranch_execz .LBB4_214
; %bb.213:                              ;   in Loop: Header=BB4_6 Depth=1
	v_not_b32_e32 v6, v2
                                        ; implicit-def: $vgpr2
	s_delay_alu instid0(VALU_DEP_1)
	v_mov_b32_e32 v7, v6
	global_store_b64 v[3:4], v[6:7], off
                                        ; implicit-def: $vgpr3_vgpr4
.LBB4_214:                              ;   in Loop: Header=BB4_6 Depth=1
	s_and_not1_saveexec_b32 s5, s5
	s_cbranch_execz .LBB4_4
; %bb.215:                              ;   in Loop: Header=BB4_6 Depth=1
	v_add_nc_u32_e32 v2, 1, v2
	global_store_b32 v[3:4], v2, off
	s_branch .LBB4_4
.LBB4_216:
	s_or_b32 exec_lo, exec_lo, s9
	s_and_saveexec_b32 s0, s2
	s_cbranch_execz .LBB4_218
.LBB4_217:
	v_mov_b32_e32 v1, 0
	s_lshl_b64 s[2:3], s[22:23], 2
	s_delay_alu instid0(SALU_CYCLE_1)
	s_add_u32 s4, s12, s2
	s_addc_u32 s5, s13, s3
	ds_load_b32 v2, v1 offset:3100
	s_add_u32 s2, s10, s2
	s_addc_u32 s3, s11, s3
	global_store_b32 v1, v5, s[4:5]
	s_waitcnt lgkmcnt(0)
	global_store_b32 v1, v2, s[2:3]
.LBB4_218:
	s_or_b32 exec_lo, exec_lo, s0
	s_delay_alu instid0(SALU_CYCLE_1)
	s_mov_b32 s8, exec_lo
	v_cmpx_gt_i32_e64 s18, v5
	s_cbranch_execz .LBB4_239
; %bb.219:
	v_ashrrev_i32_e32 v6, 31, v5
	s_add_u32 s6, s24, s30
	s_addc_u32 s7, s25, s31
	s_ashr_i32 s1, s19, 31
	s_mov_b32 s0, s19
	v_lshlrev_b64 v[1:2], 3, v[5:6]
	s_ashr_i32 s5, s18, 31
	s_mov_b32 s4, s18
	s_lshl_b64 s[2:3], s[0:1], 3
	s_lshl_b64 s[4:5], s[4:5], 3
	s_add_u32 s0, s26, s28
	s_addc_u32 s1, s27, s29
	v_add_co_u32 v3, s0, s0, v1
	s_delay_alu instid0(VALU_DEP_1) | instskip(SKIP_1) | instid1(VALU_DEP_1)
	v_add_co_ci_u32_e64 v4, s0, s1, v2, s0
	v_add_co_u32 v1, s0, s6, v1
	v_add_co_ci_u32_e64 v2, s0, s7, v2, s0
	s_delay_alu instid0(VALU_DEP_4) | instskip(NEXT) | instid1(VALU_DEP_1)
	v_add_co_u32 v3, s0, v3, v28
	v_add_co_ci_u32_e64 v7, s0, 0, v4, s0
	v_cmp_ne_u32_e32 vcc_lo, 0, v5
	s_delay_alu instid0(VALU_DEP_3) | instskip(SKIP_1) | instid1(VALU_DEP_4)
	v_add_co_u32 v6, s0, s14, v3
	v_mov_b32_e32 v4, 0
	v_add_co_ci_u32_e64 v7, s0, s15, v7, s0
	v_mov_b32_e32 v8, v5
	s_ashr_i32 s1, s17, 31
	s_mov_b32 s0, s17
	s_mov_b32 s9, 0
	s_lshl_b64 s[6:7], s[0:1], 3
	s_branch .LBB4_221
.LBB4_220:                              ;   in Loop: Header=BB4_221 Depth=1
	s_or_b32 exec_lo, exec_lo, s1
	v_add_nc_u32_e32 v8, s19, v8
	v_add_co_u32 v1, s0, v1, s2
	s_delay_alu instid0(VALU_DEP_1) | instskip(NEXT) | instid1(VALU_DEP_3)
	v_add_co_ci_u32_e64 v2, s0, s3, v2, s0
	v_cmp_le_i32_e64 s0, s18, v8
	v_add_co_u32 v6, s1, v6, s2
	s_delay_alu instid0(VALU_DEP_1) | instskip(NEXT) | instid1(VALU_DEP_3)
	v_add_co_ci_u32_e64 v7, s1, s3, v7, s1
	s_or_b32 s9, s0, s9
	s_delay_alu instid0(SALU_CYCLE_1)
	s_and_not1_b32 exec_lo, exec_lo, s9
	s_cbranch_execz .LBB4_239
.LBB4_221:                              ; =>This Loop Header: Depth=1
                                        ;     Child Loop BB4_224 Depth 2
                                        ;       Child Loop BB4_227 Depth 3
                                        ;         Child Loop BB4_229 Depth 4
                                        ;     Child Loop BB4_235 Depth 2
                                        ;       Child Loop BB4_237 Depth 3
	v_sub_nc_u32_e32 v9, s18, v8
	s_mov_b32 s10, exec_lo
	s_delay_alu instid0(VALU_DEP_1) | instskip(NEXT) | instid1(VALU_DEP_1)
	v_min_i32_e32 v24, s19, v9
	v_add_nc_u32_e32 v10, v24, v8
	v_cmpx_lt_i32_e32 0, v24
	s_cbranch_execz .LBB4_231
; %bb.222:                              ;   in Loop: Header=BB4_221 Depth=1
	v_dual_mov_b32 v12, v7 :: v_dual_mov_b32 v11, v6
	v_dual_mov_b32 v14, v2 :: v_dual_mov_b32 v13, v1
	v_mov_b32_e32 v15, v8
	s_mov_b32 s11, 0
	s_branch .LBB4_224
.LBB4_223:                              ;   in Loop: Header=BB4_224 Depth=2
	s_or_b32 exec_lo, exec_lo, s12
	v_add_nc_u32_e32 v15, 1, v15
	v_add_co_u32 v13, s0, v13, 8
	s_delay_alu instid0(VALU_DEP_1) | instskip(NEXT) | instid1(VALU_DEP_3)
	v_add_co_ci_u32_e64 v14, s0, 0, v14, s0
	v_cmp_ge_i32_e64 s0, v15, v10
	v_add_co_u32 v11, s1, v11, 8
	s_delay_alu instid0(VALU_DEP_1) | instskip(NEXT) | instid1(VALU_DEP_3)
	v_add_co_ci_u32_e64 v12, s1, 0, v12, s1
	s_or_b32 s11, s0, s11
	s_delay_alu instid0(SALU_CYCLE_1)
	s_and_not1_b32 exec_lo, exec_lo, s11
	s_cbranch_execz .LBB4_231
.LBB4_224:                              ;   Parent Loop BB4_221 Depth=1
                                        ; =>  This Loop Header: Depth=2
                                        ;       Child Loop BB4_227 Depth 3
                                        ;         Child Loop BB4_229 Depth 4
	s_delay_alu instid0(VALU_DEP_1) | instskip(SKIP_1) | instid1(VALU_DEP_1)
	v_sub_nc_u32_e32 v25, v10, v15
	s_mov_b32 s12, exec_lo
	v_cmpx_gt_i32_e64 v25, v0
	s_cbranch_execz .LBB4_223
; %bb.225:                              ;   in Loop: Header=BB4_224 Depth=2
	v_mul_lo_u32 v17, v15, s17
	v_ashrrev_i32_e32 v16, 31, v15
	s_mov_b32 s13, 0
	s_delay_alu instid0(VALU_DEP_1) | instskip(NEXT) | instid1(VALU_DEP_3)
	v_lshlrev_b64 v[19:20], 3, v[15:16]
	v_ashrrev_i32_e32 v18, 31, v17
	s_delay_alu instid0(VALU_DEP_2) | instskip(NEXT) | instid1(VALU_DEP_2)
	v_add_co_u32 v3, s0, s16, v19
	v_lshlrev_b64 v[21:22], 3, v[17:18]
	s_delay_alu instid0(VALU_DEP_4) | instskip(SKIP_1) | instid1(VALU_DEP_3)
	v_add_co_ci_u32_e64 v18, s0, s33, v20, s0
	v_dual_mov_b32 v17, v12 :: v_dual_mov_b32 v16, v11
	v_add_co_u32 v26, s0, v3, v21
	s_delay_alu instid0(VALU_DEP_1)
	v_add_co_ci_u32_e64 v28, s0, v18, v22, s0
	v_mov_b32_e32 v3, v0
	s_branch .LBB4_227
.LBB4_226:                              ;   in Loop: Header=BB4_227 Depth=3
	s_or_b32 exec_lo, exec_lo, s14
	v_lshlrev_b64 v[20:21], 3, v[3:4]
	v_add_nc_u32_e32 v3, 0x100, v3
	v_add_co_u32 v16, s1, 0x800, v16
	s_delay_alu instid0(VALU_DEP_1) | instskip(NEXT) | instid1(VALU_DEP_4)
	v_add_co_ci_u32_e64 v17, s1, 0, v17, s1
	v_add_co_u32 v20, s0, v26, v20
	s_delay_alu instid0(VALU_DEP_1)
	v_add_co_ci_u32_e64 v21, s0, v28, v21, s0
	v_cmp_ge_i32_e64 s0, v3, v25
	global_load_b64 v[22:23], v[20:21], off
	s_or_b32 s13, s0, s13
	s_waitcnt vmcnt(0)
	v_add_f64 v[18:19], v[22:23], -v[18:19]
	global_store_b64 v[20:21], v[18:19], off
	s_and_not1_b32 exec_lo, exec_lo, s13
	s_cbranch_execz .LBB4_223
.LBB4_227:                              ;   Parent Loop BB4_221 Depth=1
                                        ;     Parent Loop BB4_224 Depth=2
                                        ; =>    This Loop Header: Depth=3
                                        ;         Child Loop BB4_229 Depth 4
	v_mov_b32_e32 v18, 0
	v_mov_b32_e32 v19, 0
	s_and_saveexec_b32 s14, vcc_lo
	s_cbranch_execz .LBB4_226
; %bb.228:                              ;   in Loop: Header=BB4_227 Depth=3
	v_dual_mov_b32 v18, 0 :: v_dual_mov_b32 v21, v17
	v_dual_mov_b32 v19, 0 :: v_dual_mov_b32 v20, v16
	;; [unrolled: 1-line block ×3, first 2 shown]
	v_mov_b32_e32 v29, v5
	s_mov_b32 s15, 0
	.p2align	6
.LBB4_229:                              ;   Parent Loop BB4_221 Depth=1
                                        ;     Parent Loop BB4_224 Depth=2
                                        ;       Parent Loop BB4_227 Depth=3
                                        ; =>      This Inner Loop Header: Depth=4
	global_load_b64 v[30:31], v[20:21], off
	global_load_b64 v[32:33], v[22:23], off
	v_add_nc_u32_e32 v29, -1, v29
	v_add_co_u32 v22, s0, v22, s4
	s_delay_alu instid0(VALU_DEP_1) | instskip(NEXT) | instid1(VALU_DEP_3)
	v_add_co_ci_u32_e64 v23, s0, s5, v23, s0
	v_cmp_eq_u32_e64 s0, 0, v29
	v_add_co_u32 v20, s1, v20, s6
	s_delay_alu instid0(VALU_DEP_1) | instskip(NEXT) | instid1(VALU_DEP_3)
	v_add_co_ci_u32_e64 v21, s1, s7, v21, s1
	s_or_b32 s15, s0, s15
	s_waitcnt vmcnt(0)
	v_fma_f64 v[18:19], v[30:31], v[32:33], v[18:19]
	s_and_not1_b32 exec_lo, exec_lo, s15
	s_cbranch_execnz .LBB4_229
; %bb.230:                              ;   in Loop: Header=BB4_227 Depth=3
	s_or_b32 exec_lo, exec_lo, s15
	s_branch .LBB4_226
.LBB4_231:                              ;   in Loop: Header=BB4_221 Depth=1
	s_or_b32 exec_lo, exec_lo, s10
	s_delay_alu instid0(SALU_CYCLE_1)
	s_mov_b32 s1, exec_lo
	v_cmpx_gt_i32_e64 s18, v10
	s_cbranch_execz .LBB4_220
; %bb.232:                              ;   in Loop: Header=BB4_221 Depth=1
	v_sub_nc_u32_e32 v15, v9, v24
	s_delay_alu instid0(VALU_DEP_1) | instskip(NEXT) | instid1(VALU_DEP_1)
	v_mul_lo_u32 v16, v15, v24
	v_cmp_gt_i32_e64 s0, v16, v0
	s_delay_alu instid0(VALU_DEP_1)
	s_and_b32 exec_lo, exec_lo, s0
	s_cbranch_execz .LBB4_220
; %bb.233:                              ;   in Loop: Header=BB4_221 Depth=1
	v_sub_nc_u32_e32 v3, 0, v15
	v_ashrrev_i32_e32 v11, 31, v10
	v_mul_lo_u32 v12, v8, s17
	v_ashrrev_i32_e32 v9, 31, v8
	v_ashrrev_i32_e32 v18, 31, v15
	v_max_i32_e32 v17, v15, v3
	v_lshlrev_b64 v[10:11], 3, v[10:11]
	s_mov_b32 s10, 0
	v_lshlrev_b64 v[21:22], 3, v[8:9]
	v_mov_b32_e32 v26, v0
	v_cvt_f32_u32_e32 v3, v17
	v_sub_nc_u32_e32 v13, 0, v17
	v_add_co_u32 v19, s0, s16, v10
	s_delay_alu instid0(VALU_DEP_1) | instskip(NEXT) | instid1(VALU_DEP_4)
	v_add_co_ci_u32_e64 v20, s0, s33, v11, s0
	v_rcp_iflag_f32_e32 v3, v3
	v_add_co_u32 v21, s0, s20, v21
	s_delay_alu instid0(VALU_DEP_1) | instskip(SKIP_2) | instid1(VALU_DEP_1)
	v_add_co_ci_u32_e64 v22, s0, s21, v22, s0
	s_waitcnt_depctr 0xfff
	v_mul_f32_e32 v3, 0x4f7ffffe, v3
	v_cvt_u32_f32_e32 v3, v3
	s_delay_alu instid0(VALU_DEP_1) | instskip(SKIP_1) | instid1(VALU_DEP_1)
	v_mul_lo_u32 v14, v13, v3
	v_ashrrev_i32_e32 v13, 31, v12
	v_lshlrev_b64 v[9:10], 3, v[12:13]
	s_delay_alu instid0(VALU_DEP_3) | instskip(NEXT) | instid1(VALU_DEP_2)
	v_mul_hi_u32 v11, v3, v14
	v_add_co_u32 v23, s0, v19, v9
	s_delay_alu instid0(VALU_DEP_1) | instskip(NEXT) | instid1(VALU_DEP_3)
	v_add_co_ci_u32_e64 v24, s0, v20, v10, s0
	v_add_nc_u32_e32 v25, v3, v11
	s_branch .LBB4_235
.LBB4_234:                              ;   in Loop: Header=BB4_235 Depth=2
	s_or_b32 exec_lo, exec_lo, s11
	s_delay_alu instid0(VALU_DEP_1) | instskip(SKIP_1) | instid1(VALU_DEP_2)
	v_mad_u64_u32 v[11:12], null, v28, s17, v[3:4]
	v_add_nc_u32_e32 v26, 0x100, v26
	v_ashrrev_i32_e32 v12, 31, v11
	s_delay_alu instid0(VALU_DEP_1) | instskip(NEXT) | instid1(VALU_DEP_1)
	v_lshlrev_b64 v[11:12], 3, v[11:12]
	v_add_co_u32 v11, s0, v23, v11
	s_delay_alu instid0(VALU_DEP_1)
	v_add_co_ci_u32_e64 v12, s0, v24, v12, s0
	v_cmp_ge_i32_e64 s0, v26, v16
	global_load_b64 v[13:14], v[11:12], off
	s_or_b32 s10, s0, s10
	s_waitcnt vmcnt(0)
	v_add_f64 v[9:10], v[13:14], -v[9:10]
	global_store_b64 v[11:12], v[9:10], off
	s_and_not1_b32 exec_lo, exec_lo, s10
	s_cbranch_execz .LBB4_220
.LBB4_235:                              ;   Parent Loop BB4_221 Depth=1
                                        ; =>  This Loop Header: Depth=2
                                        ;       Child Loop BB4_237 Depth 3
	s_delay_alu instid0(VALU_DEP_1) | instskip(NEXT) | instid1(VALU_DEP_1)
	v_mul_hi_u32 v3, v26, v25
	v_mul_lo_u32 v9, v3, v17
	v_add_nc_u32_e32 v10, 1, v3
	s_delay_alu instid0(VALU_DEP_2) | instskip(NEXT) | instid1(VALU_DEP_1)
	v_sub_nc_u32_e32 v9, v26, v9
	v_sub_nc_u32_e32 v11, v9, v17
	v_cmp_ge_u32_e64 s0, v9, v17
	s_delay_alu instid0(VALU_DEP_1) | instskip(NEXT) | instid1(VALU_DEP_3)
	v_cndmask_b32_e64 v3, v3, v10, s0
	v_cndmask_b32_e64 v9, v9, v11, s0
	s_delay_alu instid0(VALU_DEP_2) | instskip(NEXT) | instid1(VALU_DEP_2)
	v_add_nc_u32_e32 v10, 1, v3
	v_cmp_ge_u32_e64 s0, v9, v17
	s_delay_alu instid0(VALU_DEP_1) | instskip(SKIP_2) | instid1(VALU_DEP_3)
	v_cndmask_b32_e64 v3, v3, v10, s0
	v_mov_b32_e32 v9, 0
	v_mov_b32_e32 v10, 0
	v_xor_b32_e32 v3, v3, v18
	s_delay_alu instid0(VALU_DEP_1) | instskip(NEXT) | instid1(VALU_DEP_1)
	v_sub_nc_u32_e32 v28, v3, v18
	v_mul_lo_u32 v3, v28, v15
	s_delay_alu instid0(VALU_DEP_1)
	v_sub_nc_u32_e32 v3, v26, v3
	s_and_saveexec_b32 s11, vcc_lo
	s_cbranch_execz .LBB4_234
; %bb.236:                              ;   in Loop: Header=BB4_235 Depth=2
	v_mov_b32_e32 v9, 0
	s_delay_alu instid0(VALU_DEP_2)
	v_dual_mov_b32 v10, 0 :: v_dual_mov_b32 v11, v3
	v_mov_b32_e32 v13, v28
	v_mov_b32_e32 v29, v5
	s_mov_b32 s12, 0
	.p2align	6
.LBB4_237:                              ;   Parent Loop BB4_221 Depth=1
                                        ;     Parent Loop BB4_235 Depth=2
                                        ; =>    This Inner Loop Header: Depth=3
	s_delay_alu instid0(VALU_DEP_3) | instskip(NEXT) | instid1(VALU_DEP_3)
	v_ashrrev_i32_e32 v12, 31, v11
	v_ashrrev_i32_e32 v14, 31, v13
	s_delay_alu instid0(VALU_DEP_3) | instskip(NEXT) | instid1(VALU_DEP_3)
	v_add_nc_u32_e32 v29, -1, v29
	v_lshlrev_b64 v[30:31], 3, v[11:12]
	s_delay_alu instid0(VALU_DEP_3) | instskip(SKIP_2) | instid1(VALU_DEP_4)
	v_lshlrev_b64 v[32:33], 3, v[13:14]
	v_add_nc_u32_e32 v13, s18, v13
	v_add_nc_u32_e32 v11, s17, v11
	v_add_co_u32 v30, s0, v19, v30
	s_delay_alu instid0(VALU_DEP_1) | instskip(SKIP_1) | instid1(VALU_DEP_1)
	v_add_co_ci_u32_e64 v31, s0, v20, v31, s0
	v_add_co_u32 v32, s0, v21, v32
	v_add_co_ci_u32_e64 v33, s0, v22, v33, s0
	v_cmp_eq_u32_e64 s0, 0, v29
	global_load_b64 v[30:31], v[30:31], off
	global_load_b64 v[32:33], v[32:33], off
	s_or_b32 s12, s0, s12
	s_waitcnt vmcnt(0)
	v_fma_f64 v[9:10], v[30:31], v[32:33], v[9:10]
	s_and_not1_b32 exec_lo, exec_lo, s12
	s_cbranch_execnz .LBB4_237
; %bb.238:                              ;   in Loop: Header=BB4_235 Depth=2
	s_or_b32 exec_lo, exec_lo, s12
	s_branch .LBB4_234
.LBB4_239:
	s_or_b32 exec_lo, exec_lo, s8
	s_waitcnt lgkmcnt(0)
	s_waitcnt_vscnt null, 0x0
	s_barrier
	buffer_gl0_inv
	s_mov_b32 s0, exec_lo
	v_cmpx_lt_i32_e32 1, v5
	s_cbranch_execz .LBB4_247
; %bb.240:
	v_mov_b32_e32 v2, 0
	s_add_u32 s1, s16, -8
	s_addc_u32 s2, s33, -1
	s_lshl_b32 s3, s17, 8
	s_mov_b32 s4, 0
	s_branch .LBB4_243
.LBB4_241:                              ;   in Loop: Header=BB4_243 Depth=1
	s_waitcnt_vscnt null, 0x0
	s_barrier
	buffer_gl0_inv
.LBB4_242:                              ;   in Loop: Header=BB4_243 Depth=1
	s_or_b32 exec_lo, exec_lo, s0
	v_cmp_gt_i32_e32 vcc_lo, 2, v3
	v_mov_b32_e32 v5, v3
	s_or_b32 s4, vcc_lo, s4
	s_delay_alu instid0(SALU_CYCLE_1)
	s_and_not1_b32 exec_lo, exec_lo, s4
	s_cbranch_execz .LBB4_247
.LBB4_243:                              ; =>This Loop Header: Depth=1
                                        ;     Child Loop BB4_246 Depth 2
	s_delay_alu instid0(VALU_DEP_1) | instskip(SKIP_1) | instid1(VALU_DEP_2)
	v_add_nc_u32_e32 v1, -1, v5
	v_add_nc_u32_e32 v6, -2, v5
	v_lshlrev_b64 v[3:4], 2, v[1:2]
	s_delay_alu instid0(VALU_DEP_1) | instskip(NEXT) | instid1(VALU_DEP_2)
	v_add_co_u32 v3, vcc_lo, s42, v3
	v_add_co_ci_u32_e32 v4, vcc_lo, s43, v4, vcc_lo
	global_load_b32 v3, v[3:4], off
	s_waitcnt vmcnt(0)
	v_not_b32_e32 v4, v3
	v_add_nc_u32_e32 v7, -1, v3
	v_cmp_gt_i32_e32 vcc_lo, 0, v3
	s_delay_alu instid0(VALU_DEP_2) | instskip(NEXT) | instid1(VALU_DEP_1)
	v_dual_cndmask_b32 v4, v7, v4 :: v_dual_cndmask_b32 v3, v1, v6
	v_cmp_ne_u32_e32 vcc_lo, v4, v1
	s_delay_alu instid0(VALU_DEP_2) | instskip(NEXT) | instid1(VALU_DEP_1)
	v_cmp_ne_u32_e64 s0, 0, v3
	s_and_b32 s5, vcc_lo, s0
	s_delay_alu instid0(SALU_CYCLE_1)
	s_and_saveexec_b32 s0, s5
	s_cbranch_execz .LBB4_242
; %bb.244:                              ;   in Loop: Header=BB4_243 Depth=1
	v_cmp_gt_i32_e32 vcc_lo, v3, v0
	s_and_b32 exec_lo, exec_lo, vcc_lo
	s_cbranch_execz .LBB4_241
; %bb.245:                              ;   in Loop: Header=BB4_243 Depth=1
	v_ashrrev_i32_e32 v1, 31, v5
	v_dual_mov_b32 v6, v27 :: v_dual_mov_b32 v7, v0
	s_mov_b32 s5, 0
	.p2align	6
.LBB4_246:                              ;   Parent Loop BB4_243 Depth=1
                                        ; =>  This Inner Loop Header: Depth=2
	s_delay_alu instid0(VALU_DEP_1) | instskip(SKIP_3) | instid1(VALU_DEP_4)
	v_ashrrev_i32_e32 v9, 31, v6
	v_add_nc_u32_e32 v8, v4, v6
	v_add_co_u32 v10, vcc_lo, v6, v5
	v_add_nc_u32_e32 v7, 0x100, v7
	v_add_co_ci_u32_e32 v11, vcc_lo, v9, v1, vcc_lo
	s_delay_alu instid0(VALU_DEP_4) | instskip(SKIP_1) | instid1(VALU_DEP_3)
	v_ashrrev_i32_e32 v9, 31, v8
	v_add_nc_u32_e32 v6, s3, v6
	v_lshlrev_b64 v[10:11], 3, v[10:11]
	s_delay_alu instid0(VALU_DEP_3) | instskip(NEXT) | instid1(VALU_DEP_2)
	v_lshlrev_b64 v[8:9], 3, v[8:9]
	v_add_co_u32 v10, vcc_lo, s1, v10
	s_delay_alu instid0(VALU_DEP_3) | instskip(NEXT) | instid1(VALU_DEP_3)
	v_add_co_ci_u32_e32 v11, vcc_lo, s2, v11, vcc_lo
	v_add_co_u32 v8, vcc_lo, s16, v8
	s_delay_alu instid0(VALU_DEP_4)
	v_add_co_ci_u32_e32 v9, vcc_lo, s33, v9, vcc_lo
	v_cmp_ge_i32_e32 vcc_lo, v7, v3
	s_clause 0x1
	global_load_b64 v[12:13], v[10:11], off
	global_load_b64 v[14:15], v[8:9], off
	s_waitcnt vmcnt(1)
	global_store_b64 v[8:9], v[12:13], off
	s_waitcnt vmcnt(0)
	global_store_b64 v[10:11], v[14:15], off
	s_or_b32 s5, vcc_lo, s5
	s_delay_alu instid0(SALU_CYCLE_1)
	s_and_not1_b32 exec_lo, exec_lo, s5
	s_cbranch_execnz .LBB4_246
	s_branch .LBB4_241
.LBB4_247:
	s_endpgm
.LBB4_248:
	v_mov_b32_e32 v5, 0
	s_and_saveexec_b32 s0, s2
	s_cbranch_execnz .LBB4_217
	s_branch .LBB4_218
	.section	.rodata,"a",@progbits
	.p2align	6, 0x0
	.amdhsa_kernel _ZN9rocsolver6v33100L18lasyf_kernel_lowerIdPdEEviiPiT0_iilS3_lS3_PT_
		.amdhsa_group_segment_fixed_size 3104
		.amdhsa_private_segment_fixed_size 0
		.amdhsa_kernarg_size 72
		.amdhsa_user_sgpr_count 14
		.amdhsa_user_sgpr_dispatch_ptr 0
		.amdhsa_user_sgpr_queue_ptr 0
		.amdhsa_user_sgpr_kernarg_segment_ptr 1
		.amdhsa_user_sgpr_dispatch_id 0
		.amdhsa_user_sgpr_private_segment_size 0
		.amdhsa_wavefront_size32 1
		.amdhsa_uses_dynamic_stack 0
		.amdhsa_enable_private_segment 0
		.amdhsa_system_sgpr_workgroup_id_x 1
		.amdhsa_system_sgpr_workgroup_id_y 1
		.amdhsa_system_sgpr_workgroup_id_z 0
		.amdhsa_system_sgpr_workgroup_info 0
		.amdhsa_system_vgpr_workitem_id 0
		.amdhsa_next_free_vgpr 50
		.amdhsa_next_free_sgpr 62
		.amdhsa_reserve_vcc 1
		.amdhsa_float_round_mode_32 0
		.amdhsa_float_round_mode_16_64 0
		.amdhsa_float_denorm_mode_32 3
		.amdhsa_float_denorm_mode_16_64 3
		.amdhsa_dx10_clamp 1
		.amdhsa_ieee_mode 1
		.amdhsa_fp16_overflow 0
		.amdhsa_workgroup_processor_mode 1
		.amdhsa_memory_ordered 1
		.amdhsa_forward_progress 0
		.amdhsa_shared_vgpr_count 0
		.amdhsa_exception_fp_ieee_invalid_op 0
		.amdhsa_exception_fp_denorm_src 0
		.amdhsa_exception_fp_ieee_div_zero 0
		.amdhsa_exception_fp_ieee_overflow 0
		.amdhsa_exception_fp_ieee_underflow 0
		.amdhsa_exception_fp_ieee_inexact 0
		.amdhsa_exception_int_div_zero 0
	.end_amdhsa_kernel
	.section	.text._ZN9rocsolver6v33100L18lasyf_kernel_lowerIdPdEEviiPiT0_iilS3_lS3_PT_,"axG",@progbits,_ZN9rocsolver6v33100L18lasyf_kernel_lowerIdPdEEviiPiT0_iilS3_lS3_PT_,comdat
.Lfunc_end4:
	.size	_ZN9rocsolver6v33100L18lasyf_kernel_lowerIdPdEEviiPiT0_iilS3_lS3_PT_, .Lfunc_end4-_ZN9rocsolver6v33100L18lasyf_kernel_lowerIdPdEEviiPiT0_iilS3_lS3_PT_
                                        ; -- End function
	.section	.AMDGPU.csdata,"",@progbits
; Kernel info:
; codeLenInByte = 11528
; NumSgprs: 64
; NumVgprs: 50
; ScratchSize: 0
; MemoryBound: 0
; FloatMode: 240
; IeeeMode: 1
; LDSByteSize: 3104 bytes/workgroup (compile time only)
; SGPRBlocks: 7
; VGPRBlocks: 6
; NumSGPRsForWavesPerEU: 64
; NumVGPRsForWavesPerEU: 50
; Occupancy: 16
; WaveLimiterHint : 1
; COMPUTE_PGM_RSRC2:SCRATCH_EN: 0
; COMPUTE_PGM_RSRC2:USER_SGPR: 14
; COMPUTE_PGM_RSRC2:TRAP_HANDLER: 0
; COMPUTE_PGM_RSRC2:TGID_X_EN: 1
; COMPUTE_PGM_RSRC2:TGID_Y_EN: 1
; COMPUTE_PGM_RSRC2:TGID_Z_EN: 0
; COMPUTE_PGM_RSRC2:TIDIG_COMP_CNT: 0
	.section	.text._ZN9rocsolver6v33100L18lasyf_kernel_upperI19rocblas_complex_numIfEPS3_EEviiPiT0_iilS5_lS5_PT_,"axG",@progbits,_ZN9rocsolver6v33100L18lasyf_kernel_upperI19rocblas_complex_numIfEPS3_EEviiPiT0_iilS5_lS5_PT_,comdat
	.globl	_ZN9rocsolver6v33100L18lasyf_kernel_upperI19rocblas_complex_numIfEPS3_EEviiPiT0_iilS5_lS5_PT_ ; -- Begin function _ZN9rocsolver6v33100L18lasyf_kernel_upperI19rocblas_complex_numIfEPS3_EEviiPiT0_iilS5_lS5_PT_
	.p2align	8
	.type	_ZN9rocsolver6v33100L18lasyf_kernel_upperI19rocblas_complex_numIfEPS3_EEviiPiT0_iilS5_lS5_PT_,@function
_ZN9rocsolver6v33100L18lasyf_kernel_upperI19rocblas_complex_numIfEPS3_EEviiPiT0_iilS5_lS5_PT_: ; @_ZN9rocsolver6v33100L18lasyf_kernel_upperI19rocblas_complex_numIfEPS3_EEviiPiT0_iilS5_lS5_PT_
; %bb.0:
	v_cmp_eq_u32_e64 s2, 0, v0
	s_mov_b32 s26, s15
	s_delay_alu instid0(VALU_DEP_1)
	s_and_saveexec_b32 s3, s2
	s_cbranch_execz .LBB5_2
; %bb.1:
	v_mov_b32_e32 v1, 0
	ds_store_b32 v1, v1 offset:2052
.LBB5_2:
	s_or_b32 exec_lo, exec_lo, s3
	s_clause 0x4
	s_load_b64 s[16:17], s[0:1], 0x18
	s_load_b256 s[4:11], s[0:1], 0x20
	s_load_b64 s[18:19], s[0:1], 0x0
	s_load_b128 s[12:15], s[0:1], 0x8
	s_load_b64 s[20:21], s[0:1], 0x40
	s_ashr_i32 s27, s26, 31
	v_lshlrev_b32_e32 v12, 3, v0
	v_add_nc_u32_e32 v11, 1, v0
	s_waitcnt lgkmcnt(0)
	s_ashr_i32 s1, s16, 31
	s_mul_i32 s3, s26, s5
	s_mul_hi_u32 s5, s26, s4
	s_mov_b32 s0, s16
	s_mul_i32 s16, s27, s4
	s_add_i32 s3, s5, s3
	s_mul_i32 s4, s26, s4
	s_add_i32 s5, s3, s16
	s_mul_i32 s3, s26, s18
	s_lshl_b64 s[22:23], s[4:5], 3
	s_mul_i32 s4, s26, s9
	s_add_u32 s5, s14, s22
	s_addc_u32 s9, s15, s23
	s_lshl_b64 s[24:25], s[0:1], 3
	s_mul_i32 s0, s3, s19
	s_add_u32 s16, s5, s24
	s_addc_u32 s33, s9, s25
	s_ashr_i32 s1, s0, 31
	s_mul_hi_u32 s3, s26, s8
	s_lshl_b64 s[28:29], s[0:1], 3
	s_mul_i32 s1, s27, s8
	s_add_u32 s43, s20, s28
	s_addc_u32 s44, s21, s29
	s_add_i32 s3, s3, s4
	s_mul_i32 s0, s26, s8
	s_add_i32 s1, s3, s1
	s_delay_alu instid0(SALU_CYCLE_1) | instskip(NEXT) | instid1(SALU_CYCLE_1)
	s_lshl_b64 s[0:1], s[0:1], 2
	s_add_u32 s40, s6, s0
	s_addc_u32 s41, s7, s1
	s_add_i32 s42, s18, -1
	s_mov_b32 s0, s19
	s_cmp_lt_i32 s42, 0
	s_mov_b32 s8, s42
	s_cbranch_scc1 .LBB5_235
; %bb.3:
	s_sub_i32 s45, s19, s18
	s_add_i32 s69, s19, -1
	s_sub_i32 s46, s18, s19
	s_cmp_eq_u32 s19, s18
	v_add_nc_u32_e32 v4, s19, v0
	s_cselect_b32 s6, -1, 0
	s_add_i32 s47, s17, 1
	s_lshl_b32 s48, s18, 1
	s_add_u32 s49, s16, 8
	s_addc_u32 s50, s33, 0
	s_add_u32 s51, s43, 8
	s_addc_u32 s52, s44, 0
	s_add_u32 s53, s43, -8
	s_addc_u32 s54, s44, -1
	s_add_u32 s55, s16, -8
	s_addc_u32 s56, s33, -1
	s_add_u32 s57, s20, s28
	s_addc_u32 s58, s21, s29
	s_add_u32 s3, s22, s24
	s_addc_u32 s4, s23, s25
	;; [unrolled: 2-line block ×4, first 2 shown]
	s_ashr_i32 s5, s18, 31
	s_mov_b32 s4, s18
	v_dual_mov_b32 v2, 0 :: v_dual_lshlrev_b32 v13, 2, v0
	s_lshl_b64 s[30:31], s[4:5], 3
	s_ashr_i32 s5, s17, 31
	s_mov_b32 s4, s17
	v_subrev_nc_u32_e32 v4, s18, v4
	s_lshl_b64 s[34:35], s[4:5], 3
	v_add_co_u32 v1, s4, s57, v12
	s_delay_alu instid0(VALU_DEP_1) | instskip(SKIP_1) | instid1(VALU_DEP_3)
	v_add_co_ci_u32_e64 v3, null, s58, 0, s4
	v_add_co_u32 v15, s7, s59, v12
	v_add_co_u32 v17, vcc_lo, v1, 4
	s_delay_alu instid0(VALU_DEP_3)
	v_add_co_ci_u32_e32 v18, vcc_lo, 0, v3, vcc_lo
	v_add_co_u32 v19, vcc_lo, v1, 8
	v_or_b32_e32 v14, 0x400, v13
	v_cmp_gt_u32_e64 s0, 0x80, v0
	v_cmp_gt_u32_e64 s1, 64, v0
	;; [unrolled: 1-line block ×3, first 2 shown]
	v_add_co_ci_u32_e64 v16, null, s60, 0, s7
	v_add_co_ci_u32_e32 v20, vcc_lo, 0, v3, vcc_lo
	v_add_nc_u32_e32 v21, 1, v4
	s_lshl_b32 s63, s17, 8
	s_lshl_b32 s64, s18, 8
	s_add_u32 s65, s59, 4
	s_addc_u32 s66, s60, 0
	s_mov_b32 s67, 0
	s_xor_b32 s68, s6, -1
	s_mov_b32 s8, s42
	s_branch .LBB5_6
.LBB5_4:                                ;   in Loop: Header=BB5_6 Depth=1
	s_or_b32 exec_lo, exec_lo, s36
	s_add_i32 s8, s7, s8
	s_delay_alu instid0(SALU_CYCLE_1)
	s_add_i32 s69, s8, s45
	s_cmp_lt_i32 s8, 0
	s_cselect_b32 s4, -1, 0
.LBB5_5:                                ;   in Loop: Header=BB5_6 Depth=1
	s_delay_alu instid0(SALU_CYCLE_1)
	s_and_b32 vcc_lo, exec_lo, s4
	s_cbranch_vccnz .LBB5_234
.LBB5_6:                                ; =>This Loop Header: Depth=1
                                        ;     Child Loop BB5_9 Depth 2
                                        ;     Child Loop BB5_16 Depth 2
                                        ;       Child Loop BB5_18 Depth 3
                                        ;     Child Loop BB5_22 Depth 2
                                        ;     Child Loop BB5_67 Depth 2
	;; [unrolled: 1-line block ×4, first 2 shown]
                                        ;       Child Loop BB5_79 Depth 3
                                        ;     Child Loop BB5_84 Depth 2
                                        ;     Child Loop BB5_128 Depth 2
	;; [unrolled: 1-line block ×9, first 2 shown]
	s_cmp_le_i32 s8, s46
	s_cselect_b32 s4, -1, 0
	s_delay_alu instid0(SALU_CYCLE_1) | instskip(NEXT) | instid1(SALU_CYCLE_1)
	s_and_b32 s4, s68, s4
	s_and_b32 vcc_lo, exec_lo, s4
	s_mov_b32 s4, -1
	s_cbranch_vccnz .LBB5_5
; %bb.7:                                ;   in Loop: Header=BB5_6 Depth=1
	v_cmp_ge_i32_e64 s5, s8, v0
	s_delay_alu instid0(VALU_DEP_1)
	s_and_saveexec_b32 s6, s5
	s_cbranch_execz .LBB5_10
; %bb.8:                                ;   in Loop: Header=BB5_6 Depth=1
	v_mad_u64_u32 v[3:4], null, s69, s18, v[0:1]
	v_mad_u64_u32 v[5:6], null, s8, s17, v[0:1]
	v_mov_b32_e32 v1, v0
	s_mov_b32 s7, 0
	s_delay_alu instid0(VALU_DEP_3) | instskip(NEXT) | instid1(VALU_DEP_3)
	v_ashrrev_i32_e32 v4, 31, v3
	v_ashrrev_i32_e32 v6, 31, v5
	s_delay_alu instid0(VALU_DEP_2) | instskip(NEXT) | instid1(VALU_DEP_2)
	v_lshlrev_b64 v[3:4], 3, v[3:4]
	v_lshlrev_b64 v[5:6], 3, v[5:6]
	s_delay_alu instid0(VALU_DEP_2) | instskip(NEXT) | instid1(VALU_DEP_3)
	v_add_co_u32 v3, vcc_lo, s57, v3
	v_add_co_ci_u32_e32 v4, vcc_lo, s58, v4, vcc_lo
	s_delay_alu instid0(VALU_DEP_3) | instskip(NEXT) | instid1(VALU_DEP_4)
	v_add_co_u32 v5, vcc_lo, s59, v5
	v_add_co_ci_u32_e32 v6, vcc_lo, s60, v6, vcc_lo
	.p2align	6
.LBB5_9:                                ;   Parent Loop BB5_6 Depth=1
                                        ; =>  This Inner Loop Header: Depth=2
	global_load_b64 v[7:8], v[5:6], off
	v_add_nc_u32_e32 v1, 0x100, v1
	v_add_co_u32 v5, vcc_lo, 0x800, v5
	v_add_co_ci_u32_e32 v6, vcc_lo, 0, v6, vcc_lo
	s_delay_alu instid0(VALU_DEP_3) | instskip(SKIP_4) | instid1(VALU_DEP_1)
	v_cmp_lt_i32_e32 vcc_lo, s8, v1
	s_or_b32 s7, vcc_lo, s7
	s_waitcnt vmcnt(0)
	global_store_b64 v[3:4], v[7:8], off
	v_add_co_u32 v3, s4, 0x800, v3
	v_add_co_ci_u32_e64 v4, s4, 0, v4, s4
	s_and_not1_b32 exec_lo, exec_lo, s7
	s_cbranch_execnz .LBB5_9
.LBB5_10:                               ;   in Loop: Header=BB5_6 Depth=1
	s_or_b32 exec_lo, exec_lo, s6
	s_cmp_ge_i32 s8, s42
	s_mov_b32 s4, -1
	s_cselect_b32 s70, -1, 0
	s_cmp_lt_i32 s8, s42
	s_waitcnt_vscnt null, 0x0
	s_waitcnt lgkmcnt(0)
	s_barrier
	buffer_gl0_inv
                                        ; implicit-def: $sgpr36
	s_cbranch_scc1 .LBB5_12
; %bb.11:                               ;   in Loop: Header=BB5_6 Depth=1
	s_mul_i32 s36, s69, s18
	s_mov_b32 s4, 0
	s_ashr_i32 s37, s36, 31
.LBB5_12:                               ;   in Loop: Header=BB5_6 Depth=1
	s_and_not1_b32 vcc_lo, exec_lo, s4
	s_cbranch_vccnz .LBB5_20
; %bb.13:                               ;   in Loop: Header=BB5_6 Depth=1
	s_mul_i32 s36, s69, s18
	s_delay_alu instid0(SALU_CYCLE_1)
	s_ashr_i32 s37, s36, 31
	s_and_saveexec_b32 s71, s5
	s_cbranch_execz .LBB5_19
; %bb.14:                               ;   in Loop: Header=BB5_6 Depth=1
	s_add_i32 s4, s8, 1
	s_not_b32 s72, s8
	s_mul_i32 s38, s4, s17
	s_add_i32 s4, s69, 1
	s_lshl_b64 s[74:75], s[36:37], 3
	s_mul_i32 s6, s4, s18
	s_add_i32 s72, s72, s18
	s_ashr_i32 s39, s38, 31
	s_ashr_i32 s7, s6, 31
	s_add_u32 s73, s43, s74
	s_addc_u32 s74, s44, s75
	s_cmp_gt_i32 s72, 0
	s_mov_b32 s9, s67
	s_cselect_b32 s75, -1, 0
	s_lshl_b64 s[6:7], s[6:7], 3
	s_lshl_b64 s[76:77], s[8:9], 3
	v_mov_b32_e32 v1, v0
	s_add_u32 s4, s6, s76
	s_addc_u32 s7, s7, s77
	s_add_u32 s6, s61, s4
	s_addc_u32 s7, s62, s7
	s_lshl_b64 s[38:39], s[38:39], 3
	s_mov_b32 s9, 0
	v_add_co_u32 v3, vcc_lo, v15, s38
	v_add_co_ci_u32_e32 v4, vcc_lo, s39, v16, vcc_lo
	s_branch .LBB5_16
.LBB5_15:                               ;   in Loop: Header=BB5_16 Depth=2
	v_lshlrev_b64 v[5:6], 3, v[1:2]
	s_delay_alu instid0(VALU_DEP_2) | instskip(SKIP_2) | instid1(VALU_DEP_1)
	v_fma_f32 v22, 0x80000000, v7, -v8
	v_fma_f32 v8, v8, 0, -v7
	v_add_co_u32 v3, s4, 0x800, v3
	v_add_co_ci_u32_e64 v4, s4, 0, v4, s4
	v_add_co_u32 v5, vcc_lo, s73, v5
	v_add_co_ci_u32_e32 v6, vcc_lo, s74, v6, vcc_lo
	global_load_b64 v[9:10], v[5:6], off
	s_waitcnt vmcnt(0)
	v_dual_fmamk_f32 v7, v10, 0x80000000, v9 :: v_dual_fmac_f32 v10, 0, v9
	v_add_nc_u32_e32 v1, 0x100, v1
	s_delay_alu instid0(VALU_DEP_2) | instskip(NEXT) | instid1(VALU_DEP_2)
	v_dual_add_f32 v7, v22, v7 :: v_dual_add_f32 v8, v8, v10
	v_cmp_lt_i32_e32 vcc_lo, s8, v1
	global_store_b64 v[5:6], v[7:8], off
	s_or_b32 s9, vcc_lo, s9
	s_delay_alu instid0(SALU_CYCLE_1)
	s_and_not1_b32 exec_lo, exec_lo, s9
	s_cbranch_execz .LBB5_19
.LBB5_16:                               ;   Parent Loop BB5_6 Depth=1
                                        ; =>  This Loop Header: Depth=2
                                        ;       Child Loop BB5_18 Depth 3
	v_dual_mov_b32 v7, 0 :: v_dual_mov_b32 v8, 0
	s_and_not1_b32 vcc_lo, exec_lo, s75
	s_cbranch_vccnz .LBB5_15
; %bb.17:                               ;   in Loop: Header=BB5_16 Depth=2
	v_dual_mov_b32 v7, 0 :: v_dual_mov_b32 v6, v4
	v_dual_mov_b32 v5, v3 :: v_dual_mov_b32 v8, 0
	s_mov_b64 s[38:39], s[6:7]
	s_mov_b32 s4, s72
	.p2align	6
.LBB5_18:                               ;   Parent Loop BB5_6 Depth=1
                                        ;     Parent Loop BB5_16 Depth=2
                                        ; =>    This Inner Loop Header: Depth=3
	global_load_b64 v[9:10], v[5:6], off
	global_load_b64 v[22:23], v2, s[38:39] offset:-4
	v_add_co_u32 v5, vcc_lo, v5, s34
	s_add_i32 s4, s4, -1
	v_add_co_ci_u32_e32 v6, vcc_lo, s35, v6, vcc_lo
	s_add_u32 s38, s38, s30
	s_addc_u32 s39, s39, s31
	s_cmp_eq_u32 s4, 0
	s_waitcnt vmcnt(0)
	v_mul_f32_e32 v24, v23, v10
	v_mul_f32_e32 v10, v22, v10
	s_delay_alu instid0(VALU_DEP_2) | instskip(NEXT) | instid1(VALU_DEP_2)
	v_fma_f32 v22, v22, v9, -v24
	v_fmac_f32_e32 v10, v23, v9
	s_delay_alu instid0(VALU_DEP_2) | instskip(NEXT) | instid1(VALU_DEP_2)
	v_add_f32_e32 v8, v8, v22
	v_add_f32_e32 v7, v7, v10
	s_cbranch_scc0 .LBB5_18
	s_branch .LBB5_15
.LBB5_19:                               ;   in Loop: Header=BB5_6 Depth=1
	s_or_b32 exec_lo, exec_lo, s71
	s_waitcnt_vscnt null, 0x0
	s_barrier
	buffer_gl0_inv
.LBB5_20:                               ;   in Loop: Header=BB5_6 Depth=1
	v_cmp_gt_i32_e64 s4, s8, v0
	v_mov_b32_e32 v5, 0
	v_bfrev_b32_e32 v1, -2
	s_delay_alu instid0(VALU_DEP_3)
	s_and_saveexec_b32 s9, s4
	s_cbranch_execz .LBB5_24
; %bb.21:                               ;   in Loop: Header=BB5_6 Depth=1
	s_lshl_b64 s[6:7], s[36:37], 3
	v_dual_mov_b32 v5, 0 :: v_dual_mov_b32 v6, v0
	v_add_co_u32 v3, vcc_lo, v17, s6
	v_add_co_ci_u32_e32 v4, vcc_lo, s7, v18, vcc_lo
	v_bfrev_b32_e32 v1, -2
	s_mov_b32 s37, 0
	.p2align	6
.LBB5_22:                               ;   Parent Loop BB5_6 Depth=1
                                        ; =>  This Inner Loop Header: Depth=2
	global_load_b64 v[7:8], v[3:4], off offset:-4
	v_add_co_u32 v3, s7, 0x800, v3
	s_delay_alu instid0(VALU_DEP_1)
	v_add_co_ci_u32_e64 v4, s7, 0, v4, s7
	s_waitcnt vmcnt(0)
	v_cmp_gt_f32_e32 vcc_lo, 0, v7
	v_cndmask_b32_e64 v7, v7, -v7, vcc_lo
	v_cmp_gt_f32_e32 vcc_lo, 0, v8
	v_cndmask_b32_e64 v8, v8, -v8, vcc_lo
	v_cmp_eq_u32_e32 vcc_lo, 0x7fffffff, v1
	s_delay_alu instid0(VALU_DEP_2) | instskip(NEXT) | instid1(VALU_DEP_1)
	v_dual_add_f32 v7, v7, v8 :: v_dual_add_nc_u32 v8, 1, v6
	v_cmp_lt_f32_e64 s6, v5, v7
	s_delay_alu instid0(VALU_DEP_1) | instskip(NEXT) | instid1(VALU_DEP_2)
	s_or_b32 vcc_lo, s6, vcc_lo
	v_dual_cndmask_b32 v1, v1, v8 :: v_dual_add_nc_u32 v6, 0x100, v6
	v_cndmask_b32_e32 v5, v5, v7, vcc_lo
	s_delay_alu instid0(VALU_DEP_2) | instskip(NEXT) | instid1(VALU_DEP_1)
	v_cmp_le_i32_e64 s7, s8, v6
	s_or_b32 s37, s7, s37
	s_delay_alu instid0(SALU_CYCLE_1)
	s_and_not1_b32 exec_lo, exec_lo, s37
	s_cbranch_execnz .LBB5_22
; %bb.23:                               ;   in Loop: Header=BB5_6 Depth=1
	s_or_b32 exec_lo, exec_lo, s37
.LBB5_24:                               ;   in Loop: Header=BB5_6 Depth=1
	s_delay_alu instid0(SALU_CYCLE_1)
	s_or_b32 exec_lo, exec_lo, s9
	s_cmp_lt_i32 s8, 2
	ds_store_b32 v14, v5
	ds_store_b32 v13, v1
	s_waitcnt lgkmcnt(0)
	s_barrier
	buffer_gl0_inv
	s_cbranch_scc1 .LBB5_61
; %bb.25:                               ;   in Loop: Header=BB5_6 Depth=1
	s_and_saveexec_b32 s7, s0
	s_cbranch_execz .LBB5_31
; %bb.26:                               ;   in Loop: Header=BB5_6 Depth=1
	ds_load_b32 v3, v14 offset:512
	ds_load_b32 v4, v13 offset:512
	s_mov_b32 s37, exec_lo
	s_waitcnt lgkmcnt(1)
	v_cmp_lt_f32_e64 s9, v5, v3
	v_cmpx_nlt_f32_e32 v5, v3
	s_cbranch_execz .LBB5_28
; %bb.27:                               ;   in Loop: Header=BB5_6 Depth=1
	v_cmp_eq_f32_e32 vcc_lo, v5, v3
	s_waitcnt lgkmcnt(0)
	v_cmp_gt_i32_e64 s6, v1, v4
	s_and_not1_b32 s9, s9, exec_lo
	s_delay_alu instid0(VALU_DEP_1) | instskip(NEXT) | instid1(SALU_CYCLE_1)
	s_and_b32 s6, vcc_lo, s6
	s_and_b32 s6, s6, exec_lo
	s_delay_alu instid0(SALU_CYCLE_1)
	s_or_b32 s9, s9, s6
.LBB5_28:                               ;   in Loop: Header=BB5_6 Depth=1
	s_or_b32 exec_lo, exec_lo, s37
	s_delay_alu instid0(VALU_DEP_2)
	s_and_saveexec_b32 s6, s9
	s_cbranch_execz .LBB5_30
; %bb.29:                               ;   in Loop: Header=BB5_6 Depth=1
	v_mov_b32_e32 v5, v3
	s_waitcnt lgkmcnt(0)
	v_mov_b32_e32 v1, v4
	ds_store_b32 v14, v3
	ds_store_b32 v13, v4
.LBB5_30:                               ;   in Loop: Header=BB5_6 Depth=1
	s_or_b32 exec_lo, exec_lo, s6
.LBB5_31:                               ;   in Loop: Header=BB5_6 Depth=1
	s_delay_alu instid0(SALU_CYCLE_1)
	s_or_b32 exec_lo, exec_lo, s7
	s_waitcnt lgkmcnt(0)
	s_barrier
	buffer_gl0_inv
	s_and_saveexec_b32 s7, s1
	s_cbranch_execz .LBB5_37
; %bb.32:                               ;   in Loop: Header=BB5_6 Depth=1
	ds_load_b32 v3, v14 offset:256
	ds_load_b32 v4, v13 offset:256
	s_mov_b32 s37, exec_lo
	s_waitcnt lgkmcnt(1)
	v_cmp_lt_f32_e64 s9, v5, v3
	v_cmpx_nlt_f32_e32 v5, v3
	s_cbranch_execz .LBB5_34
; %bb.33:                               ;   in Loop: Header=BB5_6 Depth=1
	v_cmp_eq_f32_e32 vcc_lo, v5, v3
	s_waitcnt lgkmcnt(0)
	v_cmp_gt_i32_e64 s6, v1, v4
	s_and_not1_b32 s9, s9, exec_lo
	s_delay_alu instid0(VALU_DEP_1) | instskip(NEXT) | instid1(SALU_CYCLE_1)
	s_and_b32 s6, vcc_lo, s6
	s_and_b32 s6, s6, exec_lo
	s_delay_alu instid0(SALU_CYCLE_1)
	s_or_b32 s9, s9, s6
.LBB5_34:                               ;   in Loop: Header=BB5_6 Depth=1
	s_or_b32 exec_lo, exec_lo, s37
	s_delay_alu instid0(VALU_DEP_2)
	s_and_saveexec_b32 s6, s9
	s_cbranch_execz .LBB5_36
; %bb.35:                               ;   in Loop: Header=BB5_6 Depth=1
	v_mov_b32_e32 v5, v3
	s_waitcnt lgkmcnt(0)
	v_mov_b32_e32 v1, v4
	ds_store_b32 v14, v3
	ds_store_b32 v13, v4
.LBB5_36:                               ;   in Loop: Header=BB5_6 Depth=1
	s_or_b32 exec_lo, exec_lo, s6
.LBB5_37:                               ;   in Loop: Header=BB5_6 Depth=1
	s_delay_alu instid0(SALU_CYCLE_1)
	s_or_b32 exec_lo, exec_lo, s7
	s_waitcnt lgkmcnt(0)
	s_barrier
	buffer_gl0_inv
	s_and_saveexec_b32 s9, s3
	s_cbranch_execz .LBB5_60
; %bb.38:                               ;   in Loop: Header=BB5_6 Depth=1
	ds_load_b32 v3, v14 offset:128
	ds_load_b32 v4, v13 offset:128
	s_mov_b32 s37, exec_lo
	s_waitcnt lgkmcnt(1)
	v_cmp_lt_f32_e64 s7, v5, v3
	v_cmpx_nlt_f32_e32 v5, v3
	s_cbranch_execz .LBB5_40
; %bb.39:                               ;   in Loop: Header=BB5_6 Depth=1
	v_cmp_eq_f32_e32 vcc_lo, v5, v3
	s_waitcnt lgkmcnt(0)
	v_cmp_gt_i32_e64 s6, v1, v4
	s_and_not1_b32 s7, s7, exec_lo
	s_delay_alu instid0(VALU_DEP_1) | instskip(NEXT) | instid1(SALU_CYCLE_1)
	s_and_b32 s6, vcc_lo, s6
	s_and_b32 s6, s6, exec_lo
	s_delay_alu instid0(SALU_CYCLE_1)
	s_or_b32 s7, s7, s6
.LBB5_40:                               ;   in Loop: Header=BB5_6 Depth=1
	s_or_b32 exec_lo, exec_lo, s37
	s_delay_alu instid0(VALU_DEP_2)
	s_and_saveexec_b32 s6, s7
	s_cbranch_execz .LBB5_42
; %bb.41:                               ;   in Loop: Header=BB5_6 Depth=1
	s_waitcnt lgkmcnt(0)
	v_mov_b32_e32 v1, v4
	v_mov_b32_e32 v5, v3
	ds_store_b32 v14, v3
	ds_store_b32 v13, v4
.LBB5_42:                               ;   in Loop: Header=BB5_6 Depth=1
	s_or_b32 exec_lo, exec_lo, s6
	ds_load_b32 v3, v14 offset:64
	s_waitcnt lgkmcnt(1)
	ds_load_b32 v4, v13 offset:64
	s_mov_b32 s37, exec_lo
	s_waitcnt lgkmcnt(1)
	v_cmp_lt_f32_e64 s7, v5, v3
	v_cmpx_nlt_f32_e32 v5, v3
	s_cbranch_execz .LBB5_44
; %bb.43:                               ;   in Loop: Header=BB5_6 Depth=1
	v_cmp_eq_f32_e32 vcc_lo, v5, v3
	s_waitcnt lgkmcnt(0)
	v_cmp_gt_i32_e64 s6, v1, v4
	s_and_not1_b32 s7, s7, exec_lo
	s_delay_alu instid0(VALU_DEP_1) | instskip(NEXT) | instid1(SALU_CYCLE_1)
	s_and_b32 s6, vcc_lo, s6
	s_and_b32 s6, s6, exec_lo
	s_delay_alu instid0(SALU_CYCLE_1)
	s_or_b32 s7, s7, s6
.LBB5_44:                               ;   in Loop: Header=BB5_6 Depth=1
	s_or_b32 exec_lo, exec_lo, s37
	s_delay_alu instid0(VALU_DEP_2)
	s_and_saveexec_b32 s6, s7
	s_cbranch_execz .LBB5_46
; %bb.45:                               ;   in Loop: Header=BB5_6 Depth=1
	s_waitcnt lgkmcnt(0)
	v_mov_b32_e32 v1, v4
	v_mov_b32_e32 v5, v3
	ds_store_b32 v14, v3
	ds_store_b32 v13, v4
.LBB5_46:                               ;   in Loop: Header=BB5_6 Depth=1
	s_or_b32 exec_lo, exec_lo, s6
	ds_load_b32 v3, v14 offset:32
	s_waitcnt lgkmcnt(1)
	ds_load_b32 v4, v13 offset:32
	s_mov_b32 s37, exec_lo
	s_waitcnt lgkmcnt(1)
	v_cmp_lt_f32_e64 s7, v5, v3
	v_cmpx_nlt_f32_e32 v5, v3
	s_cbranch_execz .LBB5_48
; %bb.47:                               ;   in Loop: Header=BB5_6 Depth=1
	v_cmp_eq_f32_e32 vcc_lo, v5, v3
	s_waitcnt lgkmcnt(0)
	v_cmp_gt_i32_e64 s6, v1, v4
	s_and_not1_b32 s7, s7, exec_lo
	s_delay_alu instid0(VALU_DEP_1) | instskip(NEXT) | instid1(SALU_CYCLE_1)
	s_and_b32 s6, vcc_lo, s6
	s_and_b32 s6, s6, exec_lo
	s_delay_alu instid0(SALU_CYCLE_1)
	s_or_b32 s7, s7, s6
.LBB5_48:                               ;   in Loop: Header=BB5_6 Depth=1
	s_or_b32 exec_lo, exec_lo, s37
	s_delay_alu instid0(VALU_DEP_2)
	s_and_saveexec_b32 s6, s7
	s_cbranch_execz .LBB5_50
; %bb.49:                               ;   in Loop: Header=BB5_6 Depth=1
	s_waitcnt lgkmcnt(0)
	v_mov_b32_e32 v1, v4
	v_mov_b32_e32 v5, v3
	ds_store_b32 v14, v3
	ds_store_b32 v13, v4
.LBB5_50:                               ;   in Loop: Header=BB5_6 Depth=1
	s_or_b32 exec_lo, exec_lo, s6
	ds_load_b32 v3, v14 offset:16
	s_waitcnt lgkmcnt(1)
	ds_load_b32 v4, v13 offset:16
	s_mov_b32 s37, exec_lo
	s_waitcnt lgkmcnt(1)
	v_cmp_lt_f32_e64 s7, v5, v3
	v_cmpx_nlt_f32_e32 v5, v3
	s_cbranch_execz .LBB5_52
; %bb.51:                               ;   in Loop: Header=BB5_6 Depth=1
	v_cmp_eq_f32_e32 vcc_lo, v5, v3
	s_waitcnt lgkmcnt(0)
	v_cmp_gt_i32_e64 s6, v1, v4
	s_and_not1_b32 s7, s7, exec_lo
	s_delay_alu instid0(VALU_DEP_1) | instskip(NEXT) | instid1(SALU_CYCLE_1)
	s_and_b32 s6, vcc_lo, s6
	s_and_b32 s6, s6, exec_lo
	s_delay_alu instid0(SALU_CYCLE_1)
	s_or_b32 s7, s7, s6
.LBB5_52:                               ;   in Loop: Header=BB5_6 Depth=1
	s_or_b32 exec_lo, exec_lo, s37
	s_delay_alu instid0(VALU_DEP_2)
	s_and_saveexec_b32 s6, s7
	s_cbranch_execz .LBB5_54
; %bb.53:                               ;   in Loop: Header=BB5_6 Depth=1
	s_waitcnt lgkmcnt(0)
	v_mov_b32_e32 v1, v4
	v_mov_b32_e32 v5, v3
	ds_store_b32 v14, v3
	ds_store_b32 v13, v4
.LBB5_54:                               ;   in Loop: Header=BB5_6 Depth=1
	s_or_b32 exec_lo, exec_lo, s6
	ds_load_b32 v3, v14 offset:8
	s_waitcnt lgkmcnt(1)
	ds_load_b32 v4, v13 offset:8
	s_mov_b32 s37, exec_lo
	s_waitcnt lgkmcnt(1)
	v_cmp_lt_f32_e64 s7, v5, v3
	v_cmpx_nlt_f32_e32 v5, v3
	s_cbranch_execz .LBB5_56
; %bb.55:                               ;   in Loop: Header=BB5_6 Depth=1
	v_cmp_eq_f32_e32 vcc_lo, v5, v3
	s_waitcnt lgkmcnt(0)
	v_cmp_gt_i32_e64 s6, v1, v4
	s_and_not1_b32 s7, s7, exec_lo
	s_delay_alu instid0(VALU_DEP_1) | instskip(NEXT) | instid1(SALU_CYCLE_1)
	s_and_b32 s6, vcc_lo, s6
	s_and_b32 s6, s6, exec_lo
	s_delay_alu instid0(SALU_CYCLE_1)
	s_or_b32 s7, s7, s6
.LBB5_56:                               ;   in Loop: Header=BB5_6 Depth=1
	s_or_b32 exec_lo, exec_lo, s37
	s_delay_alu instid0(VALU_DEP_2)
	s_and_saveexec_b32 s6, s7
	s_cbranch_execz .LBB5_58
; %bb.57:                               ;   in Loop: Header=BB5_6 Depth=1
	s_waitcnt lgkmcnt(0)
	v_mov_b32_e32 v1, v4
	v_mov_b32_e32 v5, v3
	ds_store_b32 v14, v3
	ds_store_b32 v13, v4
.LBB5_58:                               ;   in Loop: Header=BB5_6 Depth=1
	s_or_b32 exec_lo, exec_lo, s6
	ds_load_b32 v3, v14 offset:4
	s_waitcnt lgkmcnt(1)
	ds_load_b32 v4, v13 offset:4
	s_waitcnt lgkmcnt(1)
	v_cmp_eq_f32_e32 vcc_lo, v5, v3
	s_waitcnt lgkmcnt(0)
	v_cmp_gt_i32_e64 s6, v1, v4
	v_cmp_lt_f32_e64 s7, v5, v3
	s_delay_alu instid0(VALU_DEP_2)
	s_and_b32 s6, vcc_lo, s6
	s_delay_alu instid0(VALU_DEP_1) | instid1(SALU_CYCLE_1)
	s_or_b32 s6, s7, s6
	s_delay_alu instid0(SALU_CYCLE_1)
	s_and_b32 exec_lo, exec_lo, s6
	s_cbranch_execz .LBB5_60
; %bb.59:                               ;   in Loop: Header=BB5_6 Depth=1
	ds_store_b32 v14, v3
	ds_store_b32 v13, v4
.LBB5_60:                               ;   in Loop: Header=BB5_6 Depth=1
	s_or_b32 exec_lo, exec_lo, s9
.LBB5_61:                               ;   in Loop: Header=BB5_6 Depth=1
	s_and_saveexec_b32 s6, s2
	s_cbranch_execz .LBB5_63
; %bb.62:                               ;   in Loop: Header=BB5_6 Depth=1
	s_add_i32 s38, s36, s8
	ds_load_2addr_stride64_b32 v[5:6], v2 offset1:4
	s_ashr_i32 s39, s38, 31
	s_delay_alu instid0(SALU_CYCLE_1) | instskip(NEXT) | instid1(SALU_CYCLE_1)
	s_lshl_b64 s[38:39], s[38:39], 3
	s_add_u32 s38, s43, s38
	s_addc_u32 s39, s44, s39
	global_load_b64 v[3:4], v2, s[38:39]
	s_waitcnt vmcnt(0)
	v_cmp_gt_f32_e32 vcc_lo, 0, v3
	v_cndmask_b32_e64 v1, v3, -v3, vcc_lo
	v_cmp_gt_f32_e32 vcc_lo, 0, v4
	v_cndmask_b32_e64 v3, v4, -v4, vcc_lo
	s_waitcnt lgkmcnt(0)
	s_delay_alu instid0(VALU_DEP_1)
	v_dual_add_f32 v5, v1, v3 :: v_dual_add_nc_u32 v4, -1, v5
	ds_store_b32 v2, v4 offset:2048
	ds_store_b64 v2, v[5:6] offset:2056
.LBB5_63:                               ;   in Loop: Header=BB5_6 Depth=1
	s_or_b32 exec_lo, exec_lo, s6
	s_waitcnt lgkmcnt(0)
	s_barrier
	buffer_gl0_inv
	ds_load_b64 v[3:4], v2 offset:2056
	s_waitcnt lgkmcnt(0)
	v_cmp_lt_f32_e32 vcc_lo, v3, v4
	v_cndmask_b32_e32 v1, v3, v4, vcc_lo
	s_delay_alu instid0(VALU_DEP_1)
	v_cmp_neq_f32_e32 vcc_lo, 0, v1
	s_cbranch_vccz .LBB5_80
; %bb.64:                               ;   in Loop: Header=BB5_6 Depth=1
	v_mul_f32_e32 v1, 0x3f23f07b, v4
	s_delay_alu instid0(VALU_DEP_1)
	v_cmp_ge_f32_e32 vcc_lo, v3, v1
	s_cbranch_vccnz .LBB5_176
; %bb.65:                               ;   in Loop: Header=BB5_6 Depth=1
	ds_load_b32 v1, v2 offset:2048
	s_mov_b32 s7, exec_lo
	s_waitcnt lgkmcnt(0)
	v_cmpx_ge_i32_e64 v1, v0
	s_cbranch_execz .LBB5_68
; %bb.66:                               ;   in Loop: Header=BB5_6 Depth=1
	v_mad_u64_u32 v[3:4], null, v1, s17, v[0:1]
	s_add_i32 s6, s69, -1
	v_mov_b32_e32 v7, v0
	v_mad_u64_u32 v[5:6], null, s6, s18, v[0:1]
	s_mov_b32 s9, 0
	s_delay_alu instid0(VALU_DEP_3) | instskip(NEXT) | instid1(VALU_DEP_2)
	v_ashrrev_i32_e32 v4, 31, v3
	v_ashrrev_i32_e32 v6, 31, v5
	s_delay_alu instid0(VALU_DEP_2) | instskip(NEXT) | instid1(VALU_DEP_2)
	v_lshlrev_b64 v[3:4], 3, v[3:4]
	v_lshlrev_b64 v[5:6], 3, v[5:6]
	s_delay_alu instid0(VALU_DEP_2) | instskip(NEXT) | instid1(VALU_DEP_3)
	v_add_co_u32 v3, vcc_lo, s59, v3
	v_add_co_ci_u32_e32 v4, vcc_lo, s60, v4, vcc_lo
	s_delay_alu instid0(VALU_DEP_3) | instskip(NEXT) | instid1(VALU_DEP_4)
	v_add_co_u32 v5, vcc_lo, s57, v5
	v_add_co_ci_u32_e32 v6, vcc_lo, s58, v6, vcc_lo
	.p2align	6
.LBB5_67:                               ;   Parent Loop BB5_6 Depth=1
                                        ; =>  This Inner Loop Header: Depth=2
	global_load_b64 v[8:9], v[3:4], off
	v_add_nc_u32_e32 v7, 0x100, v7
	v_add_co_u32 v3, vcc_lo, 0x800, v3
	v_add_co_ci_u32_e32 v4, vcc_lo, 0, v4, vcc_lo
	s_delay_alu instid0(VALU_DEP_3) | instskip(SKIP_4) | instid1(VALU_DEP_1)
	v_cmp_gt_i32_e32 vcc_lo, v7, v1
	s_or_b32 s9, vcc_lo, s9
	s_waitcnt vmcnt(0)
	global_store_b64 v[5:6], v[8:9], off
	v_add_co_u32 v5, s6, 0x800, v5
	v_add_co_ci_u32_e64 v6, s6, 0, v6, s6
	s_and_not1_b32 exec_lo, exec_lo, s9
	s_cbranch_execnz .LBB5_67
.LBB5_68:                               ;   in Loop: Header=BB5_6 Depth=1
	s_or_b32 exec_lo, exec_lo, s7
	v_sub_nc_u32_e32 v5, s8, v1
	s_mov_b32 s7, exec_lo
	s_delay_alu instid0(VALU_DEP_1)
	v_cmpx_gt_i32_e64 v5, v0
	s_cbranch_execz .LBB5_71
; %bb.69:                               ;   in Loop: Header=BB5_6 Depth=1
	s_add_i32 s6, s69, -1
	v_add_nc_u32_e32 v6, v11, v1
	s_mul_i32 s6, s6, s18
	s_mov_b32 s9, 0
	v_add_nc_u32_e32 v7, s6, v1
	s_delay_alu instid0(VALU_DEP_2) | instskip(NEXT) | instid1(VALU_DEP_2)
	v_mad_u64_u32 v[3:4], null, s17, v6, v[1:2]
	v_dual_mov_b32 v6, v0 :: v_dual_add_nc_u32 v1, 1, v7
	.p2align	6
.LBB5_70:                               ;   Parent Loop BB5_6 Depth=1
                                        ; =>  This Inner Loop Header: Depth=2
	s_delay_alu instid0(VALU_DEP_2) | instskip(NEXT) | instid1(VALU_DEP_2)
	v_ashrrev_i32_e32 v4, 31, v3
	v_add_nc_u32_e32 v9, v1, v6
	v_add_nc_u32_e32 v6, 0x100, v6
	s_delay_alu instid0(VALU_DEP_3) | instskip(NEXT) | instid1(VALU_DEP_3)
	v_lshlrev_b64 v[7:8], 3, v[3:4]
	v_ashrrev_i32_e32 v10, 31, v9
	v_add_nc_u32_e32 v3, s63, v3
	s_delay_alu instid0(VALU_DEP_2) | instskip(NEXT) | instid1(VALU_DEP_4)
	v_lshlrev_b64 v[9:10], 3, v[9:10]
	v_add_co_u32 v7, vcc_lo, s16, v7
	v_add_co_ci_u32_e32 v8, vcc_lo, s33, v8, vcc_lo
	v_cmp_ge_i32_e32 vcc_lo, v6, v5
	s_delay_alu instid0(VALU_DEP_4)
	v_add_co_u32 v9, s6, s43, v9
	global_load_b64 v[7:8], v[7:8], off
	v_add_co_ci_u32_e64 v10, s6, s44, v10, s6
	s_or_b32 s9, vcc_lo, s9
	s_waitcnt vmcnt(0)
	global_store_b64 v[9:10], v[7:8], off
	s_and_not1_b32 exec_lo, exec_lo, s9
	s_cbranch_execnz .LBB5_70
.LBB5_71:                               ;   in Loop: Header=BB5_6 Depth=1
	s_or_b32 exec_lo, exec_lo, s7
	s_delay_alu instid0(SALU_CYCLE_1)
	s_and_not1_b32 vcc_lo, exec_lo, s70
	s_mov_b32 s6, -1
	s_waitcnt_vscnt null, 0x0
	s_barrier
	buffer_gl0_inv
                                        ; implicit-def: $sgpr38
	s_cbranch_vccnz .LBB5_73
; %bb.72:                               ;   in Loop: Header=BB5_6 Depth=1
	s_add_i32 s6, s69, -1
	s_delay_alu instid0(SALU_CYCLE_1)
	s_mul_i32 s38, s6, s18
	s_mov_b32 s6, 0
	s_ashr_i32 s39, s38, 31
.LBB5_73:                               ;   in Loop: Header=BB5_6 Depth=1
	s_and_not1_b32 vcc_lo, exec_lo, s6
	s_cbranch_vccnz .LBB5_82
; %bb.74:                               ;   in Loop: Header=BB5_6 Depth=1
	s_add_i32 s6, s69, 1
	s_delay_alu instid0(SALU_CYCLE_1) | instskip(NEXT) | instid1(SALU_CYCLE_1)
	s_mul_i32 s6, s6, s18
	s_sub_i32 s38, s6, s48
	s_delay_alu instid0(SALU_CYCLE_1)
	s_ashr_i32 s39, s38, 31
	s_and_saveexec_b32 s9, s5
	s_cbranch_execz .LBB5_81
; %bb.75:                               ;   in Loop: Header=BB5_6 Depth=1
	ds_load_b32 v3, v2 offset:2048
	s_add_i32 s72, s8, 1
	s_not_b32 s37, s8
	s_mul_i32 s74, s72, s17
	s_lshl_b64 s[70:71], s[38:39], 3
	s_ashr_i32 s7, s6, 31
	s_add_i32 s37, s37, s18
	s_ashr_i32 s75, s74, 31
	s_add_u32 s70, s43, s70
	s_addc_u32 s71, s44, s71
	s_cmp_gt_i32 s37, 0
	s_cselect_b32 s72, -1, 0
	s_lshl_b64 s[6:7], s[6:7], 3
	s_lshl_b64 s[74:75], s[74:75], 3
	s_waitcnt lgkmcnt(0)
	v_ashrrev_i32_e32 v4, 31, v3
	s_delay_alu instid0(VALU_DEP_1) | instskip(NEXT) | instid1(VALU_DEP_1)
	v_lshlrev_b64 v[3:4], 3, v[3:4]
	v_add_co_u32 v1, vcc_lo, v3, s6
	s_delay_alu instid0(VALU_DEP_2) | instskip(SKIP_2) | instid1(VALU_DEP_4)
	v_add_co_ci_u32_e32 v6, vcc_lo, s7, v4, vcc_lo
	v_add_co_u32 v3, vcc_lo, v15, s74
	v_add_co_ci_u32_e32 v4, vcc_lo, s75, v16, vcc_lo
	v_add_co_u32 v5, vcc_lo, s61, v1
	s_delay_alu instid0(VALU_DEP_4)
	v_add_co_ci_u32_e32 v6, vcc_lo, s62, v6, vcc_lo
	v_mov_b32_e32 v1, v0
	s_mov_b32 s7, 0
	s_branch .LBB5_77
.LBB5_76:                               ;   in Loop: Header=BB5_77 Depth=2
	v_lshlrev_b64 v[7:8], 3, v[1:2]
	s_delay_alu instid0(VALU_DEP_2) | instskip(SKIP_2) | instid1(VALU_DEP_1)
	v_fma_f32 v24, 0x80000000, v22, -v23
	v_fma_f32 v22, v23, 0, -v22
	v_add_co_u32 v3, s6, 0x800, v3
	v_add_co_ci_u32_e64 v4, s6, 0, v4, s6
	v_add_co_u32 v7, vcc_lo, s70, v7
	v_add_co_ci_u32_e32 v8, vcc_lo, s71, v8, vcc_lo
	global_load_b64 v[9:10], v[7:8], off
	s_waitcnt vmcnt(0)
	v_dual_fmamk_f32 v23, v10, 0x80000000, v9 :: v_dual_fmac_f32 v10, 0, v9
	v_add_nc_u32_e32 v1, 0x100, v1
	s_delay_alu instid0(VALU_DEP_2) | instskip(NEXT) | instid1(VALU_DEP_2)
	v_dual_add_f32 v9, v24, v23 :: v_dual_add_f32 v10, v22, v10
	v_cmp_lt_i32_e32 vcc_lo, s8, v1
	global_store_b64 v[7:8], v[9:10], off
	s_or_b32 s7, vcc_lo, s7
	s_delay_alu instid0(SALU_CYCLE_1)
	s_and_not1_b32 exec_lo, exec_lo, s7
	s_cbranch_execz .LBB5_81
.LBB5_77:                               ;   Parent Loop BB5_6 Depth=1
                                        ; =>  This Loop Header: Depth=2
                                        ;       Child Loop BB5_79 Depth 3
	v_dual_mov_b32 v22, 0 :: v_dual_mov_b32 v23, 0
	s_and_not1_b32 vcc_lo, exec_lo, s72
	s_cbranch_vccnz .LBB5_76
; %bb.78:                               ;   in Loop: Header=BB5_77 Depth=2
	v_mov_b32_e32 v8, v4
	v_dual_mov_b32 v10, v6 :: v_dual_mov_b32 v23, 0
	v_dual_mov_b32 v22, 0 :: v_dual_mov_b32 v7, v3
	v_mov_b32_e32 v9, v5
	s_mov_b32 s6, s37
	.p2align	6
.LBB5_79:                               ;   Parent Loop BB5_6 Depth=1
                                        ;     Parent Loop BB5_77 Depth=2
                                        ; =>    This Inner Loop Header: Depth=3
	global_load_b64 v[24:25], v[7:8], off
	global_load_b64 v[26:27], v[9:10], off offset:-4
	v_add_co_u32 v9, vcc_lo, v9, s30
	v_add_co_ci_u32_e32 v10, vcc_lo, s31, v10, vcc_lo
	v_add_co_u32 v7, vcc_lo, v7, s34
	v_add_co_ci_u32_e32 v8, vcc_lo, s35, v8, vcc_lo
	s_add_i32 s6, s6, -1
	s_delay_alu instid0(SALU_CYCLE_1) | instskip(SKIP_3) | instid1(VALU_DEP_2)
	s_cmp_eq_u32 s6, 0
	s_waitcnt vmcnt(0)
	v_mul_f32_e32 v28, v27, v25
	v_mul_f32_e32 v25, v26, v25
	v_fma_f32 v26, v26, v24, -v28
	s_delay_alu instid0(VALU_DEP_2) | instskip(NEXT) | instid1(VALU_DEP_1)
	v_fmac_f32_e32 v25, v27, v24
	v_dual_add_f32 v23, v23, v26 :: v_dual_add_f32 v22, v22, v25
	s_cbranch_scc0 .LBB5_79
	s_branch .LBB5_76
.LBB5_80:                               ;   in Loop: Header=BB5_6 Depth=1
                                        ; implicit-def: $sgpr6
                                        ; implicit-def: $sgpr7
                                        ; implicit-def: $sgpr5
	s_cbranch_execz .LBB5_195
	s_branch .LBB5_227
.LBB5_81:                               ;   in Loop: Header=BB5_6 Depth=1
	s_or_b32 exec_lo, exec_lo, s9
	s_waitcnt_vscnt null, 0x0
	s_barrier
	buffer_gl0_inv
.LBB5_82:                               ;   in Loop: Header=BB5_6 Depth=1
	ds_load_b32 v3, v2 offset:2048
	v_mov_b32_e32 v1, 0
	v_bfrev_b32_e32 v5, -2
	s_mov_b32 s9, exec_lo
	s_waitcnt lgkmcnt(0)
	v_sub_nc_u32_e32 v6, s8, v3
	s_delay_alu instid0(VALU_DEP_1)
	v_cmpx_gt_i32_e64 v6, v0
	s_cbranch_execz .LBB5_86
; %bb.83:                               ;   in Loop: Header=BB5_6 Depth=1
	v_ashrrev_i32_e32 v4, 31, v3
	s_lshl_b64 s[6:7], s[38:39], 3
	v_mov_b32_e32 v1, 0
	v_bfrev_b32_e32 v5, -2
	v_mov_b32_e32 v7, v0
	v_lshlrev_b64 v[3:4], 3, v[3:4]
	s_mov_b32 s37, 0
	s_delay_alu instid0(VALU_DEP_1) | instskip(NEXT) | instid1(VALU_DEP_2)
	v_add_co_u32 v3, vcc_lo, s6, v3
	v_add_co_ci_u32_e32 v4, vcc_lo, s7, v4, vcc_lo
	s_delay_alu instid0(VALU_DEP_2) | instskip(NEXT) | instid1(VALU_DEP_2)
	v_add_co_u32 v3, vcc_lo, v19, v3
	v_add_co_ci_u32_e32 v4, vcc_lo, v20, v4, vcc_lo
	.p2align	6
.LBB5_84:                               ;   Parent Loop BB5_6 Depth=1
                                        ; =>  This Inner Loop Header: Depth=2
	global_load_b64 v[8:9], v[3:4], off
	v_add_co_u32 v3, s7, 0x800, v3
	s_delay_alu instid0(VALU_DEP_1)
	v_add_co_ci_u32_e64 v4, s7, 0, v4, s7
	s_waitcnt vmcnt(0)
	v_cmp_gt_f32_e32 vcc_lo, 0, v8
	v_cndmask_b32_e64 v8, v8, -v8, vcc_lo
	v_cmp_gt_f32_e32 vcc_lo, 0, v9
	v_cndmask_b32_e64 v9, v9, -v9, vcc_lo
	v_cmp_eq_u32_e32 vcc_lo, 0x7fffffff, v5
	s_delay_alu instid0(VALU_DEP_2) | instskip(SKIP_1) | instid1(VALU_DEP_2)
	v_dual_add_f32 v8, v8, v9 :: v_dual_add_nc_u32 v9, 1, v7
	v_add_nc_u32_e32 v7, 0x100, v7
	v_cmp_lt_f32_e64 s6, v1, v8
	s_delay_alu instid0(VALU_DEP_2) | instskip(NEXT) | instid1(VALU_DEP_2)
	v_cmp_ge_i32_e64 s7, v7, v6
	s_or_b32 vcc_lo, s6, vcc_lo
	v_cndmask_b32_e32 v5, v5, v9, vcc_lo
	v_cndmask_b32_e32 v1, v1, v8, vcc_lo
	s_delay_alu instid0(VALU_DEP_3) | instskip(NEXT) | instid1(SALU_CYCLE_1)
	s_or_b32 s37, s7, s37
	s_and_not1_b32 exec_lo, exec_lo, s37
	s_cbranch_execnz .LBB5_84
; %bb.85:                               ;   in Loop: Header=BB5_6 Depth=1
	s_or_b32 exec_lo, exec_lo, s37
.LBB5_86:                               ;   in Loop: Header=BB5_6 Depth=1
	s_delay_alu instid0(SALU_CYCLE_1)
	s_or_b32 exec_lo, exec_lo, s9
	v_cmp_gt_i32_e32 vcc_lo, 2, v6
	ds_store_b32 v14, v1
	ds_store_b32 v13, v5
	s_waitcnt lgkmcnt(0)
	s_barrier
	buffer_gl0_inv
	s_cbranch_vccnz .LBB5_123
; %bb.87:                               ;   in Loop: Header=BB5_6 Depth=1
	s_and_saveexec_b32 s7, s0
	s_cbranch_execz .LBB5_93
; %bb.88:                               ;   in Loop: Header=BB5_6 Depth=1
	ds_load_b32 v3, v14 offset:512
	ds_load_b32 v4, v13 offset:512
	s_mov_b32 s37, exec_lo
	s_waitcnt lgkmcnt(1)
	v_cmp_lt_f32_e64 s9, v1, v3
	v_cmpx_nlt_f32_e32 v1, v3
	s_cbranch_execz .LBB5_90
; %bb.89:                               ;   in Loop: Header=BB5_6 Depth=1
	v_cmp_eq_f32_e32 vcc_lo, v1, v3
	s_waitcnt lgkmcnt(0)
	v_cmp_gt_i32_e64 s6, v5, v4
	s_and_not1_b32 s9, s9, exec_lo
	s_delay_alu instid0(VALU_DEP_1) | instskip(NEXT) | instid1(SALU_CYCLE_1)
	s_and_b32 s6, vcc_lo, s6
	s_and_b32 s6, s6, exec_lo
	s_delay_alu instid0(SALU_CYCLE_1)
	s_or_b32 s9, s9, s6
.LBB5_90:                               ;   in Loop: Header=BB5_6 Depth=1
	s_or_b32 exec_lo, exec_lo, s37
	s_delay_alu instid0(VALU_DEP_2)
	s_and_saveexec_b32 s6, s9
	s_cbranch_execz .LBB5_92
; %bb.91:                               ;   in Loop: Header=BB5_6 Depth=1
	v_mov_b32_e32 v1, v3
	s_waitcnt lgkmcnt(0)
	v_mov_b32_e32 v5, v4
	ds_store_b32 v14, v3
	ds_store_b32 v13, v4
.LBB5_92:                               ;   in Loop: Header=BB5_6 Depth=1
	s_or_b32 exec_lo, exec_lo, s6
.LBB5_93:                               ;   in Loop: Header=BB5_6 Depth=1
	s_delay_alu instid0(SALU_CYCLE_1)
	s_or_b32 exec_lo, exec_lo, s7
	s_waitcnt lgkmcnt(0)
	s_barrier
	buffer_gl0_inv
	s_and_saveexec_b32 s7, s1
	s_cbranch_execz .LBB5_99
; %bb.94:                               ;   in Loop: Header=BB5_6 Depth=1
	ds_load_b32 v3, v14 offset:256
	ds_load_b32 v4, v13 offset:256
	s_mov_b32 s37, exec_lo
	s_waitcnt lgkmcnt(1)
	v_cmp_lt_f32_e64 s9, v1, v3
	v_cmpx_nlt_f32_e32 v1, v3
	s_cbranch_execz .LBB5_96
; %bb.95:                               ;   in Loop: Header=BB5_6 Depth=1
	v_cmp_eq_f32_e32 vcc_lo, v1, v3
	s_waitcnt lgkmcnt(0)
	v_cmp_gt_i32_e64 s6, v5, v4
	s_and_not1_b32 s9, s9, exec_lo
	s_delay_alu instid0(VALU_DEP_1) | instskip(NEXT) | instid1(SALU_CYCLE_1)
	s_and_b32 s6, vcc_lo, s6
	s_and_b32 s6, s6, exec_lo
	s_delay_alu instid0(SALU_CYCLE_1)
	s_or_b32 s9, s9, s6
.LBB5_96:                               ;   in Loop: Header=BB5_6 Depth=1
	s_or_b32 exec_lo, exec_lo, s37
	s_delay_alu instid0(VALU_DEP_2)
	s_and_saveexec_b32 s6, s9
	s_cbranch_execz .LBB5_98
; %bb.97:                               ;   in Loop: Header=BB5_6 Depth=1
	v_mov_b32_e32 v1, v3
	s_waitcnt lgkmcnt(0)
	v_mov_b32_e32 v5, v4
	ds_store_b32 v14, v3
	ds_store_b32 v13, v4
.LBB5_98:                               ;   in Loop: Header=BB5_6 Depth=1
	s_or_b32 exec_lo, exec_lo, s6
.LBB5_99:                               ;   in Loop: Header=BB5_6 Depth=1
	s_delay_alu instid0(SALU_CYCLE_1)
	s_or_b32 exec_lo, exec_lo, s7
	s_waitcnt lgkmcnt(0)
	s_barrier
	buffer_gl0_inv
	s_and_saveexec_b32 s9, s3
	s_cbranch_execz .LBB5_122
; %bb.100:                              ;   in Loop: Header=BB5_6 Depth=1
	ds_load_b32 v3, v14 offset:128
	ds_load_b32 v4, v13 offset:128
	s_mov_b32 s37, exec_lo
	s_waitcnt lgkmcnt(1)
	v_cmp_lt_f32_e64 s7, v1, v3
	v_cmpx_nlt_f32_e32 v1, v3
	s_cbranch_execz .LBB5_102
; %bb.101:                              ;   in Loop: Header=BB5_6 Depth=1
	v_cmp_eq_f32_e32 vcc_lo, v1, v3
	s_waitcnt lgkmcnt(0)
	v_cmp_gt_i32_e64 s6, v5, v4
	s_and_not1_b32 s7, s7, exec_lo
	s_delay_alu instid0(VALU_DEP_1) | instskip(NEXT) | instid1(SALU_CYCLE_1)
	s_and_b32 s6, vcc_lo, s6
	s_and_b32 s6, s6, exec_lo
	s_delay_alu instid0(SALU_CYCLE_1)
	s_or_b32 s7, s7, s6
.LBB5_102:                              ;   in Loop: Header=BB5_6 Depth=1
	s_or_b32 exec_lo, exec_lo, s37
	s_delay_alu instid0(VALU_DEP_2)
	s_and_saveexec_b32 s6, s7
	s_cbranch_execz .LBB5_104
; %bb.103:                              ;   in Loop: Header=BB5_6 Depth=1
	s_waitcnt lgkmcnt(0)
	v_mov_b32_e32 v5, v4
	v_mov_b32_e32 v1, v3
	ds_store_b32 v14, v3
	ds_store_b32 v13, v4
.LBB5_104:                              ;   in Loop: Header=BB5_6 Depth=1
	s_or_b32 exec_lo, exec_lo, s6
	ds_load_b32 v3, v14 offset:64
	s_waitcnt lgkmcnt(1)
	ds_load_b32 v4, v13 offset:64
	s_mov_b32 s37, exec_lo
	s_waitcnt lgkmcnt(1)
	v_cmp_lt_f32_e64 s7, v1, v3
	v_cmpx_nlt_f32_e32 v1, v3
	s_cbranch_execz .LBB5_106
; %bb.105:                              ;   in Loop: Header=BB5_6 Depth=1
	v_cmp_eq_f32_e32 vcc_lo, v1, v3
	s_waitcnt lgkmcnt(0)
	v_cmp_gt_i32_e64 s6, v5, v4
	s_and_not1_b32 s7, s7, exec_lo
	s_delay_alu instid0(VALU_DEP_1) | instskip(NEXT) | instid1(SALU_CYCLE_1)
	s_and_b32 s6, vcc_lo, s6
	s_and_b32 s6, s6, exec_lo
	s_delay_alu instid0(SALU_CYCLE_1)
	s_or_b32 s7, s7, s6
.LBB5_106:                              ;   in Loop: Header=BB5_6 Depth=1
	s_or_b32 exec_lo, exec_lo, s37
	s_delay_alu instid0(VALU_DEP_2)
	s_and_saveexec_b32 s6, s7
	s_cbranch_execz .LBB5_108
; %bb.107:                              ;   in Loop: Header=BB5_6 Depth=1
	s_waitcnt lgkmcnt(0)
	v_mov_b32_e32 v5, v4
	v_mov_b32_e32 v1, v3
	ds_store_b32 v14, v3
	ds_store_b32 v13, v4
.LBB5_108:                              ;   in Loop: Header=BB5_6 Depth=1
	s_or_b32 exec_lo, exec_lo, s6
	ds_load_b32 v3, v14 offset:32
	s_waitcnt lgkmcnt(1)
	;; [unrolled: 31-line block ×5, first 2 shown]
	ds_load_b32 v4, v13 offset:4
	s_waitcnt lgkmcnt(1)
	v_cmp_eq_f32_e32 vcc_lo, v1, v3
	s_waitcnt lgkmcnt(0)
	v_cmp_gt_i32_e64 s6, v5, v4
	v_cmp_lt_f32_e64 s7, v1, v3
	s_delay_alu instid0(VALU_DEP_2)
	s_and_b32 s6, vcc_lo, s6
	s_delay_alu instid0(VALU_DEP_1) | instid1(SALU_CYCLE_1)
	s_or_b32 s6, s7, s6
	s_delay_alu instid0(SALU_CYCLE_1)
	s_and_b32 exec_lo, exec_lo, s6
	s_cbranch_execz .LBB5_122
; %bb.121:                              ;   in Loop: Header=BB5_6 Depth=1
	ds_store_b32 v14, v3
	ds_store_b32 v13, v4
.LBB5_122:                              ;   in Loop: Header=BB5_6 Depth=1
	s_or_b32 exec_lo, exec_lo, s9
.LBB5_123:                              ;   in Loop: Header=BB5_6 Depth=1
	s_and_saveexec_b32 s6, s2
	s_cbranch_execz .LBB5_125
; %bb.124:                              ;   in Loop: Header=BB5_6 Depth=1
	ds_load_b32 v1, v2 offset:1024
	s_waitcnt lgkmcnt(0)
	ds_store_b32 v2, v1 offset:2064
.LBB5_125:                              ;   in Loop: Header=BB5_6 Depth=1
	s_or_b32 exec_lo, exec_lo, s6
	ds_load_b32 v6, v2 offset:2048
	s_waitcnt lgkmcnt(0)
	v_cmp_gt_i32_e32 vcc_lo, 1, v6
	s_cbranch_vccnz .LBB5_170
; %bb.126:                              ;   in Loop: Header=BB5_6 Depth=1
	v_mov_b32_e32 v5, 0
	v_bfrev_b32_e32 v1, -2
	s_mov_b32 s9, exec_lo
	v_cmpx_gt_i32_e64 v6, v0
	s_cbranch_execz .LBB5_130
; %bb.127:                              ;   in Loop: Header=BB5_6 Depth=1
	s_lshl_b64 s[6:7], s[38:39], 3
	v_mov_b32_e32 v5, 0
	v_add_co_u32 v3, vcc_lo, v17, s6
	v_add_co_ci_u32_e32 v4, vcc_lo, s7, v18, vcc_lo
	v_bfrev_b32_e32 v1, -2
	v_mov_b32_e32 v7, v0
	s_mov_b32 s37, 0
	.p2align	6
.LBB5_128:                              ;   Parent Loop BB5_6 Depth=1
                                        ; =>  This Inner Loop Header: Depth=2
	global_load_b64 v[8:9], v[3:4], off offset:-4
	v_add_co_u32 v3, s7, 0x800, v3
	s_delay_alu instid0(VALU_DEP_1)
	v_add_co_ci_u32_e64 v4, s7, 0, v4, s7
	s_waitcnt vmcnt(0)
	v_cmp_gt_f32_e32 vcc_lo, 0, v8
	v_cndmask_b32_e64 v8, v8, -v8, vcc_lo
	v_cmp_gt_f32_e32 vcc_lo, 0, v9
	v_cndmask_b32_e64 v9, v9, -v9, vcc_lo
	v_cmp_eq_u32_e32 vcc_lo, 0x7fffffff, v1
	s_delay_alu instid0(VALU_DEP_2) | instskip(SKIP_1) | instid1(VALU_DEP_2)
	v_dual_add_f32 v8, v8, v9 :: v_dual_add_nc_u32 v9, 1, v7
	v_add_nc_u32_e32 v7, 0x100, v7
	v_cmp_lt_f32_e64 s6, v5, v8
	s_delay_alu instid0(VALU_DEP_2) | instskip(NEXT) | instid1(VALU_DEP_2)
	v_cmp_ge_i32_e64 s7, v7, v6
	s_or_b32 vcc_lo, s6, vcc_lo
	v_cndmask_b32_e32 v1, v1, v9, vcc_lo
	v_cndmask_b32_e32 v5, v5, v8, vcc_lo
	s_delay_alu instid0(VALU_DEP_3) | instskip(NEXT) | instid1(SALU_CYCLE_1)
	s_or_b32 s37, s7, s37
	s_and_not1_b32 exec_lo, exec_lo, s37
	s_cbranch_execnz .LBB5_128
; %bb.129:                              ;   in Loop: Header=BB5_6 Depth=1
	s_or_b32 exec_lo, exec_lo, s37
.LBB5_130:                              ;   in Loop: Header=BB5_6 Depth=1
	s_delay_alu instid0(SALU_CYCLE_1)
	s_or_b32 exec_lo, exec_lo, s9
	v_cmp_eq_u32_e32 vcc_lo, 1, v6
	ds_store_b32 v14, v5
	ds_store_b32 v13, v1
	s_waitcnt lgkmcnt(0)
	s_barrier
	buffer_gl0_inv
	s_cbranch_vccnz .LBB5_167
; %bb.131:                              ;   in Loop: Header=BB5_6 Depth=1
	s_and_saveexec_b32 s7, s0
	s_cbranch_execz .LBB5_137
; %bb.132:                              ;   in Loop: Header=BB5_6 Depth=1
	ds_load_b32 v3, v14 offset:512
	ds_load_b32 v4, v13 offset:512
	s_mov_b32 s37, exec_lo
	s_waitcnt lgkmcnt(1)
	v_cmp_lt_f32_e64 s9, v5, v3
	v_cmpx_nlt_f32_e32 v5, v3
	s_cbranch_execz .LBB5_134
; %bb.133:                              ;   in Loop: Header=BB5_6 Depth=1
	v_cmp_eq_f32_e32 vcc_lo, v5, v3
	s_waitcnt lgkmcnt(0)
	v_cmp_gt_i32_e64 s6, v1, v4
	s_and_not1_b32 s9, s9, exec_lo
	s_delay_alu instid0(VALU_DEP_1) | instskip(NEXT) | instid1(SALU_CYCLE_1)
	s_and_b32 s6, vcc_lo, s6
	s_and_b32 s6, s6, exec_lo
	s_delay_alu instid0(SALU_CYCLE_1)
	s_or_b32 s9, s9, s6
.LBB5_134:                              ;   in Loop: Header=BB5_6 Depth=1
	s_or_b32 exec_lo, exec_lo, s37
	s_delay_alu instid0(VALU_DEP_2)
	s_and_saveexec_b32 s6, s9
	s_cbranch_execz .LBB5_136
; %bb.135:                              ;   in Loop: Header=BB5_6 Depth=1
	v_mov_b32_e32 v5, v3
	s_waitcnt lgkmcnt(0)
	v_mov_b32_e32 v1, v4
	ds_store_b32 v14, v3
	ds_store_b32 v13, v4
.LBB5_136:                              ;   in Loop: Header=BB5_6 Depth=1
	s_or_b32 exec_lo, exec_lo, s6
.LBB5_137:                              ;   in Loop: Header=BB5_6 Depth=1
	s_delay_alu instid0(SALU_CYCLE_1)
	s_or_b32 exec_lo, exec_lo, s7
	s_waitcnt lgkmcnt(0)
	s_barrier
	buffer_gl0_inv
	s_and_saveexec_b32 s7, s1
	s_cbranch_execz .LBB5_143
; %bb.138:                              ;   in Loop: Header=BB5_6 Depth=1
	ds_load_b32 v3, v14 offset:256
	ds_load_b32 v4, v13 offset:256
	s_mov_b32 s37, exec_lo
	s_waitcnt lgkmcnt(1)
	v_cmp_lt_f32_e64 s9, v5, v3
	v_cmpx_nlt_f32_e32 v5, v3
	s_cbranch_execz .LBB5_140
; %bb.139:                              ;   in Loop: Header=BB5_6 Depth=1
	v_cmp_eq_f32_e32 vcc_lo, v5, v3
	s_waitcnt lgkmcnt(0)
	v_cmp_gt_i32_e64 s6, v1, v4
	s_and_not1_b32 s9, s9, exec_lo
	s_delay_alu instid0(VALU_DEP_1) | instskip(NEXT) | instid1(SALU_CYCLE_1)
	s_and_b32 s6, vcc_lo, s6
	s_and_b32 s6, s6, exec_lo
	s_delay_alu instid0(SALU_CYCLE_1)
	s_or_b32 s9, s9, s6
.LBB5_140:                              ;   in Loop: Header=BB5_6 Depth=1
	s_or_b32 exec_lo, exec_lo, s37
	s_delay_alu instid0(VALU_DEP_2)
	s_and_saveexec_b32 s6, s9
	s_cbranch_execz .LBB5_142
; %bb.141:                              ;   in Loop: Header=BB5_6 Depth=1
	v_mov_b32_e32 v5, v3
	s_waitcnt lgkmcnt(0)
	v_mov_b32_e32 v1, v4
	ds_store_b32 v14, v3
	ds_store_b32 v13, v4
.LBB5_142:                              ;   in Loop: Header=BB5_6 Depth=1
	s_or_b32 exec_lo, exec_lo, s6
.LBB5_143:                              ;   in Loop: Header=BB5_6 Depth=1
	s_delay_alu instid0(SALU_CYCLE_1)
	s_or_b32 exec_lo, exec_lo, s7
	s_waitcnt lgkmcnt(0)
	s_barrier
	buffer_gl0_inv
	s_and_saveexec_b32 s9, s3
	s_cbranch_execz .LBB5_166
; %bb.144:                              ;   in Loop: Header=BB5_6 Depth=1
	ds_load_b32 v3, v14 offset:128
	ds_load_b32 v4, v13 offset:128
	s_mov_b32 s37, exec_lo
	s_waitcnt lgkmcnt(1)
	v_cmp_lt_f32_e64 s7, v5, v3
	v_cmpx_nlt_f32_e32 v5, v3
	s_cbranch_execz .LBB5_146
; %bb.145:                              ;   in Loop: Header=BB5_6 Depth=1
	v_cmp_eq_f32_e32 vcc_lo, v5, v3
	s_waitcnt lgkmcnt(0)
	v_cmp_gt_i32_e64 s6, v1, v4
	s_and_not1_b32 s7, s7, exec_lo
	s_delay_alu instid0(VALU_DEP_1) | instskip(NEXT) | instid1(SALU_CYCLE_1)
	s_and_b32 s6, vcc_lo, s6
	s_and_b32 s6, s6, exec_lo
	s_delay_alu instid0(SALU_CYCLE_1)
	s_or_b32 s7, s7, s6
.LBB5_146:                              ;   in Loop: Header=BB5_6 Depth=1
	s_or_b32 exec_lo, exec_lo, s37
	s_delay_alu instid0(VALU_DEP_2)
	s_and_saveexec_b32 s6, s7
	s_cbranch_execz .LBB5_148
; %bb.147:                              ;   in Loop: Header=BB5_6 Depth=1
	s_waitcnt lgkmcnt(0)
	v_mov_b32_e32 v1, v4
	v_mov_b32_e32 v5, v3
	ds_store_b32 v14, v3
	ds_store_b32 v13, v4
.LBB5_148:                              ;   in Loop: Header=BB5_6 Depth=1
	s_or_b32 exec_lo, exec_lo, s6
	ds_load_b32 v3, v14 offset:64
	s_waitcnt lgkmcnt(1)
	ds_load_b32 v4, v13 offset:64
	s_mov_b32 s37, exec_lo
	s_waitcnt lgkmcnt(1)
	v_cmp_lt_f32_e64 s7, v5, v3
	v_cmpx_nlt_f32_e32 v5, v3
	s_cbranch_execz .LBB5_150
; %bb.149:                              ;   in Loop: Header=BB5_6 Depth=1
	v_cmp_eq_f32_e32 vcc_lo, v5, v3
	s_waitcnt lgkmcnt(0)
	v_cmp_gt_i32_e64 s6, v1, v4
	s_and_not1_b32 s7, s7, exec_lo
	s_delay_alu instid0(VALU_DEP_1) | instskip(NEXT) | instid1(SALU_CYCLE_1)
	s_and_b32 s6, vcc_lo, s6
	s_and_b32 s6, s6, exec_lo
	s_delay_alu instid0(SALU_CYCLE_1)
	s_or_b32 s7, s7, s6
.LBB5_150:                              ;   in Loop: Header=BB5_6 Depth=1
	s_or_b32 exec_lo, exec_lo, s37
	s_delay_alu instid0(VALU_DEP_2)
	s_and_saveexec_b32 s6, s7
	s_cbranch_execz .LBB5_152
; %bb.151:                              ;   in Loop: Header=BB5_6 Depth=1
	s_waitcnt lgkmcnt(0)
	v_mov_b32_e32 v1, v4
	v_mov_b32_e32 v5, v3
	ds_store_b32 v14, v3
	ds_store_b32 v13, v4
.LBB5_152:                              ;   in Loop: Header=BB5_6 Depth=1
	s_or_b32 exec_lo, exec_lo, s6
	ds_load_b32 v3, v14 offset:32
	s_waitcnt lgkmcnt(1)
	;; [unrolled: 31-line block ×5, first 2 shown]
	ds_load_b32 v4, v13 offset:4
	s_waitcnt lgkmcnt(1)
	v_cmp_eq_f32_e32 vcc_lo, v5, v3
	s_waitcnt lgkmcnt(0)
	v_cmp_gt_i32_e64 s6, v1, v4
	v_cmp_lt_f32_e64 s7, v5, v3
	s_delay_alu instid0(VALU_DEP_2)
	s_and_b32 s6, vcc_lo, s6
	s_delay_alu instid0(VALU_DEP_1) | instid1(SALU_CYCLE_1)
	s_or_b32 s6, s7, s6
	s_delay_alu instid0(SALU_CYCLE_1)
	s_and_b32 exec_lo, exec_lo, s6
	s_cbranch_execz .LBB5_166
; %bb.165:                              ;   in Loop: Header=BB5_6 Depth=1
	ds_store_b32 v14, v3
	ds_store_b32 v13, v4
.LBB5_166:                              ;   in Loop: Header=BB5_6 Depth=1
	s_or_b32 exec_lo, exec_lo, s9
.LBB5_167:                              ;   in Loop: Header=BB5_6 Depth=1
	s_and_saveexec_b32 s6, s2
	s_cbranch_execz .LBB5_169
; %bb.168:                              ;   in Loop: Header=BB5_6 Depth=1
	ds_load_b32 v1, v2 offset:2064
	ds_load_b32 v3, v2 offset:1024
	s_waitcnt lgkmcnt(0)
	v_cmp_lt_f32_e32 vcc_lo, v1, v3
	v_cndmask_b32_e32 v1, v1, v3, vcc_lo
	ds_store_b32 v2, v1 offset:2064
.LBB5_169:                              ;   in Loop: Header=BB5_6 Depth=1
	s_or_b32 exec_lo, exec_lo, s6
.LBB5_170:                              ;   in Loop: Header=BB5_6 Depth=1
	s_waitcnt lgkmcnt(0)
	s_barrier
	buffer_gl0_inv
	ds_load_b64 v[3:4], v2 offset:2056
	ds_load_b32 v1, v2 offset:2064
	s_waitcnt lgkmcnt(0)
	v_div_scale_f32 v5, null, v1, v1, v4
	s_delay_alu instid0(VALU_DEP_1) | instskip(SKIP_2) | instid1(VALU_DEP_1)
	v_rcp_f32_e32 v6, v5
	s_waitcnt_depctr 0xfff
	v_fma_f32 v7, -v5, v6, 1.0
	v_fmac_f32_e32 v6, v7, v6
	v_div_scale_f32 v7, vcc_lo, v4, v1, v4
	s_delay_alu instid0(VALU_DEP_1) | instskip(NEXT) | instid1(VALU_DEP_1)
	v_mul_f32_e32 v8, v7, v6
	v_fma_f32 v9, -v5, v8, v7
	s_delay_alu instid0(VALU_DEP_1) | instskip(NEXT) | instid1(VALU_DEP_1)
	v_fmac_f32_e32 v8, v9, v6
	v_fma_f32 v5, -v5, v8, v7
	s_delay_alu instid0(VALU_DEP_1) | instskip(SKIP_1) | instid1(VALU_DEP_2)
	v_div_fmas_f32 v5, v5, v6, v8
	v_mul_f32_e32 v6, 0x3f23f07b, v4
	v_div_fixup_f32 v4, v5, v1, v4
	s_delay_alu instid0(VALU_DEP_1) | instskip(NEXT) | instid1(VALU_DEP_1)
	v_mul_f32_e32 v4, v6, v4
	v_cmp_ge_f32_e32 vcc_lo, v3, v4
	s_cbranch_vccnz .LBB5_176
; %bb.171:                              ;   in Loop: Header=BB5_6 Depth=1
	ds_load_b32 v5, v2 offset:2048
	v_mul_f32_e32 v1, 0x3f23f07b, v1
	s_waitcnt lgkmcnt(0)
	v_readfirstlane_b32 s6, v5
	s_delay_alu instid0(VALU_DEP_1) | instskip(NEXT) | instid1(SALU_CYCLE_1)
	s_add_i32 s6, s6, s38
	s_ashr_i32 s7, s6, 31
	s_delay_alu instid0(SALU_CYCLE_1) | instskip(NEXT) | instid1(SALU_CYCLE_1)
	s_lshl_b64 s[6:7], s[6:7], 3
	s_add_u32 s6, s43, s6
	s_addc_u32 s7, s44, s7
	global_load_b64 v[3:4], v2, s[6:7]
	v_readfirstlane_b32 s6, v5
	s_waitcnt vmcnt(0)
	v_cmp_gt_f32_e32 vcc_lo, 0, v3
	v_cndmask_b32_e64 v3, v3, -v3, vcc_lo
	v_cmp_gt_f32_e32 vcc_lo, 0, v4
	v_cndmask_b32_e64 v4, v4, -v4, vcc_lo
	s_delay_alu instid0(VALU_DEP_1) | instskip(NEXT) | instid1(VALU_DEP_1)
	v_add_f32_e32 v3, v3, v4
	v_cmp_nge_f32_e32 vcc_lo, v3, v1
	s_cbranch_vccnz .LBB5_199
; %bb.172:                              ;   in Loop: Header=BB5_6 Depth=1
	s_and_saveexec_b32 s7, s5
	s_cbranch_execz .LBB5_175
; %bb.173:                              ;   in Loop: Header=BB5_6 Depth=1
	v_add_nc_u32_e32 v3, s36, v0
	v_add_nc_u32_e32 v5, s38, v0
	v_mov_b32_e32 v1, v0
	s_mov_b32 s9, 0
	s_delay_alu instid0(VALU_DEP_3) | instskip(NEXT) | instid1(VALU_DEP_3)
	v_ashrrev_i32_e32 v4, 31, v3
	v_ashrrev_i32_e32 v6, 31, v5
	s_delay_alu instid0(VALU_DEP_2) | instskip(NEXT) | instid1(VALU_DEP_2)
	v_lshlrev_b64 v[3:4], 3, v[3:4]
	v_lshlrev_b64 v[5:6], 3, v[5:6]
	s_delay_alu instid0(VALU_DEP_2) | instskip(NEXT) | instid1(VALU_DEP_3)
	v_add_co_u32 v3, vcc_lo, s57, v3
	v_add_co_ci_u32_e32 v4, vcc_lo, s58, v4, vcc_lo
	s_delay_alu instid0(VALU_DEP_3) | instskip(NEXT) | instid1(VALU_DEP_4)
	v_add_co_u32 v5, vcc_lo, s57, v5
	v_add_co_ci_u32_e32 v6, vcc_lo, s58, v6, vcc_lo
	.p2align	6
.LBB5_174:                              ;   Parent Loop BB5_6 Depth=1
                                        ; =>  This Inner Loop Header: Depth=2
	global_load_b64 v[7:8], v[5:6], off
	v_add_nc_u32_e32 v1, 0x100, v1
	v_add_co_u32 v5, vcc_lo, 0x800, v5
	v_add_co_ci_u32_e32 v6, vcc_lo, 0, v6, vcc_lo
	s_delay_alu instid0(VALU_DEP_3) | instskip(SKIP_4) | instid1(VALU_DEP_1)
	v_cmp_lt_i32_e32 vcc_lo, s8, v1
	s_or_b32 s9, vcc_lo, s9
	s_waitcnt vmcnt(0)
	global_store_b64 v[3:4], v[7:8], off
	v_add_co_u32 v3, s5, 0x800, v3
	v_add_co_ci_u32_e64 v4, s5, 0, v4, s5
	s_and_not1_b32 exec_lo, exec_lo, s9
	s_cbranch_execnz .LBB5_174
.LBB5_175:                              ;   in Loop: Header=BB5_6 Depth=1
	s_or_b32 exec_lo, exec_lo, s7
	s_mov_b32 s7, -1
	s_mov_b32 s37, -1
	s_waitcnt_vscnt null, 0x0
	s_barrier
	buffer_gl0_inv
	s_add_i32 s9, s37, s8
	s_delay_alu instid0(SALU_CYCLE_1) | instskip(NEXT) | instid1(SALU_CYCLE_1)
	s_add_i32 s38, s9, 1
	s_cmp_eq_u32 s6, s38
	s_cbranch_scc0 .LBB5_177
	s_branch .LBB5_192
.LBB5_176:                              ;   in Loop: Header=BB5_6 Depth=1
	s_mov_b32 s7, -1
	s_mov_b32 s37, -1
	s_mov_b32 s6, s8
	s_add_i32 s9, s37, s8
	s_delay_alu instid0(SALU_CYCLE_1) | instskip(NEXT) | instid1(SALU_CYCLE_1)
	s_add_i32 s38, s9, 1
	s_cmp_eq_u32 s6, s38
	s_cbranch_scc1 .LBB5_192
.LBB5_177:                              ;   in Loop: Header=BB5_6 Depth=1
	s_and_saveexec_b32 s5, s2
	s_cbranch_execz .LBB5_179
; %bb.178:                              ;   in Loop: Header=BB5_6 Depth=1
	s_mul_i32 s70, s38, s47
	s_delay_alu instid0(SALU_CYCLE_1) | instskip(NEXT) | instid1(SALU_CYCLE_1)
	s_ashr_i32 s71, s70, 31
	s_lshl_b64 s[70:71], s[70:71], 3
	s_delay_alu instid0(SALU_CYCLE_1) | instskip(SKIP_3) | instid1(SALU_CYCLE_1)
	s_add_u32 s70, s16, s70
	s_addc_u32 s71, s33, s71
	global_load_b64 v[3:4], v2, s[70:71]
	s_mul_i32 s70, s6, s47
	s_ashr_i32 s71, s70, 31
	s_delay_alu instid0(SALU_CYCLE_1) | instskip(NEXT) | instid1(SALU_CYCLE_1)
	s_lshl_b64 s[70:71], s[70:71], 3
	s_add_u32 s70, s16, s70
	s_addc_u32 s71, s33, s71
	s_waitcnt vmcnt(0)
	global_store_b64 v2, v[3:4], s[70:71]
.LBB5_179:                              ;   in Loop: Header=BB5_6 Depth=1
	s_or_b32 exec_lo, exec_lo, s5
	s_sub_i32 s39, s9, s6
	s_mov_b32 s70, exec_lo
	v_cmpx_gt_i32_e64 s39, v0
	s_cbranch_execz .LBB5_182
; %bb.180:                              ;   in Loop: Header=BB5_6 Depth=1
	v_add_nc_u32_e32 v1, s6, v11
	s_mul_i32 s5, s38, s17
	s_mov_b32 s72, 0
	s_add_i32 s71, s6, s5
	s_delay_alu instid0(SALU_CYCLE_1)
	s_add_i32 s71, s71, 1
	v_mad_u64_u32 v[3:4], null, s17, v1, s[6:7]
	v_mov_b32_e32 v1, v0
	.p2align	6
.LBB5_181:                              ;   Parent Loop BB5_6 Depth=1
                                        ; =>  This Inner Loop Header: Depth=2
	s_delay_alu instid0(VALU_DEP_1) | instskip(SKIP_1) | instid1(VALU_DEP_2)
	v_add_nc_u32_e32 v4, s71, v1
	v_add_nc_u32_e32 v1, 0x100, v1
	v_ashrrev_i32_e32 v5, 31, v4
	s_delay_alu instid0(VALU_DEP_1) | instskip(NEXT) | instid1(VALU_DEP_1)
	v_lshlrev_b64 v[4:5], 3, v[4:5]
	v_add_co_u32 v4, vcc_lo, s16, v4
	s_delay_alu instid0(VALU_DEP_2) | instskip(SKIP_4) | instid1(VALU_DEP_1)
	v_add_co_ci_u32_e32 v5, vcc_lo, s33, v5, vcc_lo
	v_cmp_le_i32_e32 vcc_lo, s39, v1
	global_load_b64 v[5:6], v[4:5], off
	v_ashrrev_i32_e32 v4, 31, v3
	s_or_b32 s72, vcc_lo, s72
	v_lshlrev_b64 v[7:8], 3, v[3:4]
	v_add_nc_u32_e32 v3, s63, v3
	s_delay_alu instid0(VALU_DEP_2) | instskip(NEXT) | instid1(VALU_DEP_1)
	v_add_co_u32 v7, s5, s16, v7
	v_add_co_ci_u32_e64 v8, s5, s33, v8, s5
	s_waitcnt vmcnt(0)
	global_store_b64 v[7:8], v[5:6], off
	s_and_not1_b32 exec_lo, exec_lo, s72
	s_cbranch_execnz .LBB5_181
.LBB5_182:                              ;   in Loop: Header=BB5_6 Depth=1
	s_or_b32 exec_lo, exec_lo, s70
	s_delay_alu instid0(SALU_CYCLE_1)
	s_mov_b32 s39, exec_lo
	v_cmpx_gt_i32_e64 s6, v0
	s_cbranch_execz .LBB5_185
; %bb.183:                              ;   in Loop: Header=BB5_6 Depth=1
	v_mad_u64_u32 v[3:4], null, s6, s17, v[0:1]
	v_mad_u64_u32 v[5:6], null, s38, s17, v[0:1]
	v_mov_b32_e32 v1, v0
	s_mov_b32 s70, 0
	s_delay_alu instid0(VALU_DEP_3) | instskip(NEXT) | instid1(VALU_DEP_3)
	v_ashrrev_i32_e32 v4, 31, v3
	v_ashrrev_i32_e32 v6, 31, v5
	s_delay_alu instid0(VALU_DEP_2) | instskip(NEXT) | instid1(VALU_DEP_2)
	v_lshlrev_b64 v[3:4], 3, v[3:4]
	v_lshlrev_b64 v[5:6], 3, v[5:6]
	s_delay_alu instid0(VALU_DEP_2) | instskip(NEXT) | instid1(VALU_DEP_3)
	v_add_co_u32 v3, vcc_lo, s59, v3
	v_add_co_ci_u32_e32 v4, vcc_lo, s60, v4, vcc_lo
	s_delay_alu instid0(VALU_DEP_3) | instskip(NEXT) | instid1(VALU_DEP_4)
	v_add_co_u32 v5, vcc_lo, s59, v5
	v_add_co_ci_u32_e32 v6, vcc_lo, s60, v6, vcc_lo
	.p2align	6
.LBB5_184:                              ;   Parent Loop BB5_6 Depth=1
                                        ; =>  This Inner Loop Header: Depth=2
	global_load_b64 v[7:8], v[5:6], off
	v_add_nc_u32_e32 v1, 0x100, v1
	v_add_co_u32 v5, vcc_lo, 0x800, v5
	v_add_co_ci_u32_e32 v6, vcc_lo, 0, v6, vcc_lo
	s_delay_alu instid0(VALU_DEP_3) | instskip(SKIP_4) | instid1(VALU_DEP_1)
	v_cmp_le_i32_e32 vcc_lo, s6, v1
	s_or_b32 s70, vcc_lo, s70
	s_waitcnt vmcnt(0)
	global_store_b64 v[3:4], v[7:8], off
	v_add_co_u32 v3, s5, 0x800, v3
	v_add_co_ci_u32_e64 v4, s5, 0, v4, s5
	s_and_not1_b32 exec_lo, exec_lo, s70
	s_cbranch_execnz .LBB5_184
.LBB5_185:                              ;   in Loop: Header=BB5_6 Depth=1
	s_or_b32 exec_lo, exec_lo, s39
	s_not_b32 s5, s8
	s_mov_b32 s39, exec_lo
	s_add_i32 s5, s5, s18
	s_waitcnt_vscnt null, 0x0
	s_barrier
	buffer_gl0_inv
	v_cmpx_gt_i32_e64 s5, v0
	s_cbranch_execz .LBB5_188
; %bb.186:                              ;   in Loop: Header=BB5_6 Depth=1
	v_add_nc_u32_e32 v1, s8, v11
	v_mov_b32_e32 v3, v0
	s_ashr_i32 s70, s9, 31
	s_mov_b32 s71, 0
	s_delay_alu instid0(VALU_DEP_2)
	v_mul_lo_u32 v1, s17, v1
	.p2align	6
.LBB5_187:                              ;   Parent Loop BB5_6 Depth=1
                                        ; =>  This Inner Loop Header: Depth=2
	s_delay_alu instid0(VALU_DEP_1) | instskip(SKIP_3) | instid1(VALU_DEP_4)
	v_add_nc_u32_e32 v4, s6, v1
	v_ashrrev_i32_e32 v7, 31, v1
	v_add_co_u32 v6, vcc_lo, v1, s9
	v_add_nc_u32_e32 v3, 0x100, v3
	v_ashrrev_i32_e32 v5, 31, v4
	s_delay_alu instid0(VALU_DEP_4) | instskip(SKIP_1) | instid1(VALU_DEP_3)
	v_add_co_ci_u32_e32 v7, vcc_lo, s70, v7, vcc_lo
	v_add_nc_u32_e32 v1, s63, v1
	v_lshlrev_b64 v[4:5], 3, v[4:5]
	s_delay_alu instid0(VALU_DEP_3) | instskip(NEXT) | instid1(VALU_DEP_2)
	v_lshlrev_b64 v[6:7], 3, v[6:7]
	v_add_co_u32 v4, vcc_lo, s16, v4
	s_delay_alu instid0(VALU_DEP_3) | instskip(NEXT) | instid1(VALU_DEP_3)
	v_add_co_ci_u32_e32 v5, vcc_lo, s33, v5, vcc_lo
	v_add_co_u32 v6, vcc_lo, s49, v6
	s_delay_alu instid0(VALU_DEP_4)
	v_add_co_ci_u32_e32 v7, vcc_lo, s50, v7, vcc_lo
	v_cmp_le_i32_e32 vcc_lo, s5, v3
	s_clause 0x1
	global_load_b64 v[8:9], v[4:5], off
	global_load_b64 v[22:23], v[6:7], off
	s_waitcnt vmcnt(1)
	global_store_b64 v[6:7], v[8:9], off
	s_waitcnt vmcnt(0)
	global_store_b64 v[4:5], v[22:23], off
	s_or_b32 s71, vcc_lo, s71
	s_delay_alu instid0(SALU_CYCLE_1)
	s_and_not1_b32 exec_lo, exec_lo, s71
	s_cbranch_execnz .LBB5_187
.LBB5_188:                              ;   in Loop: Header=BB5_6 Depth=1
	s_or_b32 exec_lo, exec_lo, s39
	s_sub_i32 s5, s18, s38
	s_mov_b32 s38, exec_lo
	v_cmpx_gt_i32_e64 s5, v0
	s_cbranch_execz .LBB5_191
; %bb.189:                              ;   in Loop: Header=BB5_6 Depth=1
	v_add3_u32 v1, s8, s37, v21
	v_mov_b32_e32 v3, v0
	s_ashr_i32 s37, s9, 31
	s_mov_b32 s39, 0
	s_delay_alu instid0(VALU_DEP_2)
	v_mul_lo_u32 v1, s18, v1
	.p2align	6
.LBB5_190:                              ;   Parent Loop BB5_6 Depth=1
                                        ; =>  This Inner Loop Header: Depth=2
	s_delay_alu instid0(VALU_DEP_1) | instskip(SKIP_3) | instid1(VALU_DEP_4)
	v_add_nc_u32_e32 v4, s6, v1
	v_ashrrev_i32_e32 v7, 31, v1
	v_add_co_u32 v6, vcc_lo, v1, s9
	v_add_nc_u32_e32 v3, 0x100, v3
	v_ashrrev_i32_e32 v5, 31, v4
	s_delay_alu instid0(VALU_DEP_4) | instskip(SKIP_1) | instid1(VALU_DEP_3)
	v_add_co_ci_u32_e32 v7, vcc_lo, s37, v7, vcc_lo
	v_add_nc_u32_e32 v1, s64, v1
	v_lshlrev_b64 v[4:5], 3, v[4:5]
	s_delay_alu instid0(VALU_DEP_3) | instskip(NEXT) | instid1(VALU_DEP_2)
	v_lshlrev_b64 v[6:7], 3, v[6:7]
	v_add_co_u32 v4, vcc_lo, s43, v4
	s_delay_alu instid0(VALU_DEP_3) | instskip(NEXT) | instid1(VALU_DEP_3)
	v_add_co_ci_u32_e32 v5, vcc_lo, s44, v5, vcc_lo
	v_add_co_u32 v6, vcc_lo, s51, v6
	s_delay_alu instid0(VALU_DEP_4)
	v_add_co_ci_u32_e32 v7, vcc_lo, s52, v7, vcc_lo
	v_cmp_le_i32_e32 vcc_lo, s5, v3
	s_clause 0x1
	global_load_b64 v[8:9], v[4:5], off
	global_load_b64 v[22:23], v[6:7], off
	s_waitcnt vmcnt(1)
	global_store_b64 v[6:7], v[8:9], off
	s_waitcnt vmcnt(0)
	global_store_b64 v[4:5], v[22:23], off
	s_or_b32 s39, vcc_lo, s39
	s_delay_alu instid0(SALU_CYCLE_1)
	s_and_not1_b32 exec_lo, exec_lo, s39
	s_cbranch_execnz .LBB5_190
.LBB5_191:                              ;   in Loop: Header=BB5_6 Depth=1
	s_or_b32 exec_lo, exec_lo, s38
	s_waitcnt_vscnt null, 0x0
	s_barrier
	buffer_gl0_inv
.LBB5_192:                              ;   in Loop: Header=BB5_6 Depth=1
	s_xor_b32 s5, s7, -1
                                        ; implicit-def: $sgpr7
	s_delay_alu instid0(SALU_CYCLE_1)
	s_and_b32 vcc_lo, exec_lo, s5
	s_mov_b32 s5, -1
	s_cbranch_vccnz .LBB5_196
; %bb.193:                              ;   in Loop: Header=BB5_6 Depth=1
	s_and_b32 vcc_lo, exec_lo, s5
	s_cbranch_vccnz .LBB5_217
.LBB5_194:                              ;   in Loop: Header=BB5_6 Depth=1
.LBB5_195:                              ;   in Loop: Header=BB5_6 Depth=1
	s_and_saveexec_b32 s36, s2
	s_cbranch_execz .LBB5_4
	s_branch .LBB5_230
.LBB5_196:                              ;   in Loop: Header=BB5_6 Depth=1
	s_cmp_lt_i32 s8, 2
	s_cbranch_scc1 .LBB5_214
; %bb.197:                              ;   in Loop: Header=BB5_6 Depth=1
	s_ashr_i32 s5, s36, 31
	s_ashr_i32 s9, s8, 31
	s_add_u32 s38, s36, s8
	s_addc_u32 s39, s5, s9
	s_delay_alu instid0(SALU_CYCLE_1) | instskip(NEXT) | instid1(SALU_CYCLE_1)
	s_lshl_b64 s[38:39], s[38:39], 3
	s_add_u32 s38, s53, s38
	s_addc_u32 s39, s54, s39
	global_load_b64 v[3:4], v2, s[38:39]
	s_add_i32 s38, s36, s8
	s_delay_alu instid0(SALU_CYCLE_1) | instskip(NEXT) | instid1(SALU_CYCLE_1)
	s_ashr_i32 s39, s38, 31
	s_lshl_b64 s[38:39], s[38:39], 3
	s_delay_alu instid0(SALU_CYCLE_1)
	s_add_u32 s38, s43, s38
	s_addc_u32 s39, s44, s39
	global_load_b64 v[5:6], v2, s[38:39]
	s_waitcnt vmcnt(1)
	v_cmp_gt_f32_e32 vcc_lo, 0, v3
	v_cndmask_b32_e64 v1, v3, -v3, vcc_lo
	v_cmp_gt_f32_e32 vcc_lo, 0, v4
	v_cndmask_b32_e64 v7, v4, -v4, vcc_lo
	s_delay_alu instid0(VALU_DEP_1) | instskip(NEXT) | instid1(VALU_DEP_1)
	v_cmp_ngt_f32_e64 s5, v1, v7
	s_and_b32 vcc_lo, exec_lo, s5
	s_cbranch_vccz .LBB5_200
; %bb.198:                              ;   in Loop: Header=BB5_6 Depth=1
	v_div_scale_f32 v1, null, v4, v4, v3
	v_div_scale_f32 v9, vcc_lo, v3, v4, v3
	s_delay_alu instid0(VALU_DEP_2) | instskip(SKIP_2) | instid1(VALU_DEP_1)
	v_rcp_f32_e32 v7, v1
	s_waitcnt_depctr 0xfff
	v_fma_f32 v8, -v1, v7, 1.0
	v_fmac_f32_e32 v7, v8, v7
	s_delay_alu instid0(VALU_DEP_1) | instskip(NEXT) | instid1(VALU_DEP_1)
	v_mul_f32_e32 v8, v9, v7
	v_fma_f32 v10, -v1, v8, v9
	s_delay_alu instid0(VALU_DEP_1) | instskip(NEXT) | instid1(VALU_DEP_1)
	v_fmac_f32_e32 v8, v10, v7
	v_fma_f32 v1, -v1, v8, v9
	s_delay_alu instid0(VALU_DEP_1) | instskip(NEXT) | instid1(VALU_DEP_1)
	v_div_fmas_f32 v1, v1, v7, v8
	v_div_fixup_f32 v1, v1, v4, v3
	s_delay_alu instid0(VALU_DEP_1) | instskip(NEXT) | instid1(VALU_DEP_1)
	v_fma_f32 v7, v3, v1, v4
	v_div_scale_f32 v8, null, v7, v7, 1.0
	v_div_scale_f32 v22, vcc_lo, 1.0, v7, 1.0
	s_delay_alu instid0(VALU_DEP_2) | instskip(SKIP_2) | instid1(VALU_DEP_1)
	v_rcp_f32_e32 v9, v8
	s_waitcnt_depctr 0xfff
	v_fma_f32 v10, -v8, v9, 1.0
	v_fmac_f32_e32 v9, v10, v9
	s_delay_alu instid0(VALU_DEP_1) | instskip(NEXT) | instid1(VALU_DEP_1)
	v_mul_f32_e32 v10, v22, v9
	v_fma_f32 v23, -v8, v10, v22
	s_delay_alu instid0(VALU_DEP_1) | instskip(NEXT) | instid1(VALU_DEP_1)
	v_fmac_f32_e32 v10, v23, v9
	v_fma_f32 v8, -v8, v10, v22
	s_delay_alu instid0(VALU_DEP_1) | instskip(SKIP_2) | instid1(VALU_DEP_2)
	v_div_fmas_f32 v8, v8, v9, v10
	s_waitcnt vmcnt(0)
	v_fma_f32 v9, v1, v5, v6
	v_div_fixup_f32 v7, v8, v7, 1.0
	v_fma_f32 v8, v1, v6, -v5
	s_delay_alu instid0(VALU_DEP_2) | instskip(NEXT) | instid1(VALU_DEP_2)
	v_mul_f32_e32 v1, v7, v9
	v_mul_f32_e32 v9, v7, v8
	s_cbranch_execz .LBB5_201
	s_branch .LBB5_202
.LBB5_199:                              ;   in Loop: Header=BB5_6 Depth=1
	s_mov_b32 s7, 0
	s_mov_b32 s37, -2
	s_delay_alu instid0(SALU_CYCLE_1) | instskip(NEXT) | instid1(SALU_CYCLE_1)
	s_add_i32 s9, s37, s8
	s_add_i32 s38, s9, 1
	s_delay_alu instid0(SALU_CYCLE_1)
	s_cmp_eq_u32 s6, s38
	s_cbranch_scc0 .LBB5_177
	s_branch .LBB5_192
.LBB5_200:                              ;   in Loop: Header=BB5_6 Depth=1
                                        ; implicit-def: $vgpr1
                                        ; implicit-def: $vgpr9
.LBB5_201:                              ;   in Loop: Header=BB5_6 Depth=1
	v_div_scale_f32 v1, null, v3, v3, v4
	v_div_scale_f32 v9, vcc_lo, v4, v3, v4
	s_delay_alu instid0(VALU_DEP_2) | instskip(SKIP_2) | instid1(VALU_DEP_1)
	v_rcp_f32_e32 v7, v1
	s_waitcnt_depctr 0xfff
	v_fma_f32 v8, -v1, v7, 1.0
	v_fmac_f32_e32 v7, v8, v7
	s_delay_alu instid0(VALU_DEP_1) | instskip(NEXT) | instid1(VALU_DEP_1)
	v_mul_f32_e32 v8, v9, v7
	v_fma_f32 v10, -v1, v8, v9
	s_delay_alu instid0(VALU_DEP_1) | instskip(NEXT) | instid1(VALU_DEP_1)
	v_fmac_f32_e32 v8, v10, v7
	v_fma_f32 v1, -v1, v8, v9
	s_delay_alu instid0(VALU_DEP_1) | instskip(NEXT) | instid1(VALU_DEP_1)
	v_div_fmas_f32 v1, v1, v7, v8
	v_div_fixup_f32 v1, v1, v3, v4
	s_delay_alu instid0(VALU_DEP_1) | instskip(NEXT) | instid1(VALU_DEP_1)
	v_fma_f32 v7, v4, v1, v3
	v_div_scale_f32 v8, null, v7, v7, 1.0
	v_div_scale_f32 v22, vcc_lo, 1.0, v7, 1.0
	s_delay_alu instid0(VALU_DEP_2) | instskip(SKIP_2) | instid1(VALU_DEP_1)
	v_rcp_f32_e32 v9, v8
	s_waitcnt_depctr 0xfff
	v_fma_f32 v10, -v8, v9, 1.0
	v_fmac_f32_e32 v9, v10, v9
	s_delay_alu instid0(VALU_DEP_1) | instskip(NEXT) | instid1(VALU_DEP_1)
	v_mul_f32_e32 v10, v22, v9
	v_fma_f32 v23, -v8, v10, v22
	s_delay_alu instid0(VALU_DEP_1) | instskip(NEXT) | instid1(VALU_DEP_1)
	v_fmac_f32_e32 v10, v23, v9
	v_fma_f32 v8, -v8, v10, v22
	s_delay_alu instid0(VALU_DEP_1) | instskip(SKIP_3) | instid1(VALU_DEP_3)
	v_div_fmas_f32 v8, v8, v9, v10
	s_waitcnt vmcnt(0)
	v_fma_f32 v9, v1, v6, v5
	v_fma_f32 v5, -v1, v5, v6
	v_div_fixup_f32 v7, v8, v7, 1.0
	s_delay_alu instid0(VALU_DEP_1) | instskip(NEXT) | instid1(VALU_DEP_3)
	v_mul_f32_e32 v1, v7, v9
	v_mul_f32_e32 v9, v7, v5
.LBB5_202:                              ;   in Loop: Header=BB5_6 Depth=1
	s_add_i32 s7, s69, -1
	s_delay_alu instid0(SALU_CYCLE_1) | instskip(NEXT) | instid1(SALU_CYCLE_1)
	s_mul_i32 s7, s7, s18
	s_ashr_i32 s37, s7, 31
	s_add_u32 s38, s7, s8
	s_addc_u32 s39, s37, s9
	s_delay_alu instid0(SALU_CYCLE_1) | instskip(NEXT) | instid1(SALU_CYCLE_1)
	s_lshl_b64 s[38:39], s[38:39], 3
	s_add_u32 s38, s53, s38
	s_addc_u32 s39, s54, s39
	s_and_b32 vcc_lo, exec_lo, s5
	global_load_b64 v[5:6], v2, s[38:39]
	s_cbranch_vccz .LBB5_204
; %bb.203:                              ;   in Loop: Header=BB5_6 Depth=1
	v_div_scale_f32 v7, null, v4, v4, v3
	v_div_scale_f32 v22, vcc_lo, v3, v4, v3
	s_delay_alu instid0(VALU_DEP_2) | instskip(SKIP_2) | instid1(VALU_DEP_1)
	v_rcp_f32_e32 v8, v7
	s_waitcnt_depctr 0xfff
	v_fma_f32 v10, -v7, v8, 1.0
	v_fmac_f32_e32 v8, v10, v8
	s_delay_alu instid0(VALU_DEP_1) | instskip(NEXT) | instid1(VALU_DEP_1)
	v_mul_f32_e32 v10, v22, v8
	v_fma_f32 v23, -v7, v10, v22
	s_delay_alu instid0(VALU_DEP_1) | instskip(NEXT) | instid1(VALU_DEP_1)
	v_fmac_f32_e32 v10, v23, v8
	v_fma_f32 v7, -v7, v10, v22
	s_delay_alu instid0(VALU_DEP_1) | instskip(NEXT) | instid1(VALU_DEP_1)
	v_div_fmas_f32 v7, v7, v8, v10
	v_div_fixup_f32 v7, v7, v4, v3
	s_delay_alu instid0(VALU_DEP_1) | instskip(NEXT) | instid1(VALU_DEP_1)
	v_fma_f32 v8, v3, v7, v4
	v_div_scale_f32 v10, null, v8, v8, 1.0
	v_div_scale_f32 v24, vcc_lo, 1.0, v8, 1.0
	s_delay_alu instid0(VALU_DEP_2) | instskip(SKIP_2) | instid1(VALU_DEP_1)
	v_rcp_f32_e32 v22, v10
	s_waitcnt_depctr 0xfff
	v_fma_f32 v23, -v10, v22, 1.0
	v_fmac_f32_e32 v22, v23, v22
	s_delay_alu instid0(VALU_DEP_1) | instskip(NEXT) | instid1(VALU_DEP_1)
	v_mul_f32_e32 v23, v24, v22
	v_fma_f32 v25, -v10, v23, v24
	s_delay_alu instid0(VALU_DEP_1) | instskip(NEXT) | instid1(VALU_DEP_1)
	v_fmac_f32_e32 v23, v25, v22
	v_fma_f32 v10, -v10, v23, v24
	s_delay_alu instid0(VALU_DEP_1) | instskip(SKIP_3) | instid1(VALU_DEP_3)
	v_div_fmas_f32 v10, v10, v22, v23
	s_waitcnt vmcnt(0)
	v_fma_f32 v22, v7, v5, v6
	v_fma_f32 v7, v7, v6, -v5
	v_div_fixup_f32 v8, v10, v8, 1.0
	s_delay_alu instid0(VALU_DEP_1) | instskip(NEXT) | instid1(VALU_DEP_3)
	v_mul_f32_e32 v10, v8, v22
	v_mul_f32_e32 v22, v8, v7
	s_cbranch_execz .LBB5_205
	s_branch .LBB5_206
.LBB5_204:                              ;   in Loop: Header=BB5_6 Depth=1
                                        ; implicit-def: $vgpr10
                                        ; implicit-def: $vgpr22
.LBB5_205:                              ;   in Loop: Header=BB5_6 Depth=1
	v_div_scale_f32 v7, null, v3, v3, v4
	v_div_scale_f32 v22, vcc_lo, v4, v3, v4
	s_delay_alu instid0(VALU_DEP_2) | instskip(SKIP_2) | instid1(VALU_DEP_1)
	v_rcp_f32_e32 v8, v7
	s_waitcnt_depctr 0xfff
	v_fma_f32 v10, -v7, v8, 1.0
	v_fmac_f32_e32 v8, v10, v8
	s_delay_alu instid0(VALU_DEP_1) | instskip(NEXT) | instid1(VALU_DEP_1)
	v_mul_f32_e32 v10, v22, v8
	v_fma_f32 v23, -v7, v10, v22
	s_delay_alu instid0(VALU_DEP_1) | instskip(NEXT) | instid1(VALU_DEP_1)
	v_fmac_f32_e32 v10, v23, v8
	v_fma_f32 v7, -v7, v10, v22
	s_delay_alu instid0(VALU_DEP_1) | instskip(NEXT) | instid1(VALU_DEP_1)
	v_div_fmas_f32 v7, v7, v8, v10
	v_div_fixup_f32 v7, v7, v3, v4
	s_delay_alu instid0(VALU_DEP_1) | instskip(NEXT) | instid1(VALU_DEP_1)
	v_fma_f32 v8, v4, v7, v3
	v_div_scale_f32 v10, null, v8, v8, 1.0
	v_div_scale_f32 v24, vcc_lo, 1.0, v8, 1.0
	s_delay_alu instid0(VALU_DEP_2) | instskip(SKIP_2) | instid1(VALU_DEP_1)
	v_rcp_f32_e32 v22, v10
	s_waitcnt_depctr 0xfff
	v_fma_f32 v23, -v10, v22, 1.0
	v_fmac_f32_e32 v22, v23, v22
	s_delay_alu instid0(VALU_DEP_1) | instskip(NEXT) | instid1(VALU_DEP_1)
	v_mul_f32_e32 v23, v24, v22
	v_fma_f32 v25, -v10, v23, v24
	s_delay_alu instid0(VALU_DEP_1) | instskip(NEXT) | instid1(VALU_DEP_1)
	v_fmac_f32_e32 v23, v25, v22
	v_fma_f32 v10, -v10, v23, v24
	s_delay_alu instid0(VALU_DEP_1) | instskip(SKIP_3) | instid1(VALU_DEP_3)
	v_div_fmas_f32 v10, v10, v22, v23
	s_waitcnt vmcnt(0)
	v_fma_f32 v22, v7, v6, v5
	v_fma_f32 v5, -v7, v5, v6
	v_div_fixup_f32 v8, v10, v8, 1.0
	s_delay_alu instid0(VALU_DEP_1) | instskip(NEXT) | instid1(VALU_DEP_3)
	v_mul_f32_e32 v10, v8, v22
	v_mul_f32_e32 v22, v8, v5
.LBB5_206:                              ;   in Loop: Header=BB5_6 Depth=1
	s_waitcnt vmcnt(0)
	s_delay_alu instid0(VALU_DEP_1) | instskip(NEXT) | instid1(VALU_DEP_1)
	v_mul_f32_e32 v5, v9, v22
	v_fma_f32 v5, v1, v10, -v5
	s_delay_alu instid0(VALU_DEP_1) | instskip(NEXT) | instid1(VALU_DEP_1)
	v_dual_mul_f32 v6, v9, v10 :: v_dual_add_f32 v7, -1.0, v5
	v_dual_fmac_f32 v6, v1, v22 :: v_dual_mul_f32 v5, v4, v7
	s_delay_alu instid0(VALU_DEP_1) | instskip(NEXT) | instid1(VALU_DEP_2)
	v_mul_f32_e32 v8, v4, v6
	v_fmac_f32_e32 v5, v3, v6
	s_delay_alu instid0(VALU_DEP_2) | instskip(NEXT) | instid1(VALU_DEP_1)
	v_fma_f32 v4, v3, v7, -v8
	v_cmp_gt_f32_e32 vcc_lo, 0, v4
	v_cndmask_b32_e64 v3, v4, -v4, vcc_lo
	s_delay_alu instid0(VALU_DEP_4) | instskip(SKIP_1) | instid1(VALU_DEP_1)
	v_cmp_gt_f32_e32 vcc_lo, 0, v5
	v_cndmask_b32_e64 v6, v5, -v5, vcc_lo
	v_cmp_ngt_f32_e32 vcc_lo, v3, v6
	s_cbranch_vccz .LBB5_208
; %bb.207:                              ;   in Loop: Header=BB5_6 Depth=1
	v_div_scale_f32 v3, null, v5, v5, v4
	v_div_scale_f32 v8, vcc_lo, v4, v5, v4
	s_delay_alu instid0(VALU_DEP_2) | instskip(SKIP_2) | instid1(VALU_DEP_1)
	v_rcp_f32_e32 v6, v3
	s_waitcnt_depctr 0xfff
	v_fma_f32 v7, -v3, v6, 1.0
	v_fmac_f32_e32 v6, v7, v6
	s_delay_alu instid0(VALU_DEP_1) | instskip(NEXT) | instid1(VALU_DEP_1)
	v_mul_f32_e32 v7, v8, v6
	v_fma_f32 v23, -v3, v7, v8
	s_delay_alu instid0(VALU_DEP_1) | instskip(NEXT) | instid1(VALU_DEP_1)
	v_fmac_f32_e32 v7, v23, v6
	v_fma_f32 v3, -v3, v7, v8
	s_delay_alu instid0(VALU_DEP_1) | instskip(NEXT) | instid1(VALU_DEP_1)
	v_div_fmas_f32 v3, v3, v6, v7
	v_div_fixup_f32 v3, v3, v5, v4
	s_delay_alu instid0(VALU_DEP_1) | instskip(NEXT) | instid1(VALU_DEP_1)
	v_fma_f32 v6, v4, v3, v5
	v_div_scale_f32 v7, null, v6, v6, 1.0
	v_div_scale_f32 v24, vcc_lo, 1.0, v6, 1.0
	s_delay_alu instid0(VALU_DEP_2) | instskip(SKIP_2) | instid1(VALU_DEP_1)
	v_rcp_f32_e32 v8, v7
	s_waitcnt_depctr 0xfff
	v_fma_f32 v23, -v7, v8, 1.0
	v_fmac_f32_e32 v8, v23, v8
	s_delay_alu instid0(VALU_DEP_1) | instskip(NEXT) | instid1(VALU_DEP_1)
	v_mul_f32_e32 v23, v24, v8
	v_fma_f32 v25, -v7, v23, v24
	s_delay_alu instid0(VALU_DEP_1) | instskip(NEXT) | instid1(VALU_DEP_1)
	v_fmac_f32_e32 v23, v25, v8
	v_fma_f32 v7, -v7, v23, v24
	s_delay_alu instid0(VALU_DEP_1) | instskip(SKIP_2) | instid1(VALU_DEP_3)
	v_div_fmas_f32 v7, v7, v8, v23
	v_add_f32_e32 v8, 0, v3
	v_fma_f32 v3, v3, 0, -1.0
	v_div_fixup_f32 v6, v7, v6, 1.0
	s_delay_alu instid0(VALU_DEP_1) | instskip(NEXT) | instid1(VALU_DEP_4)
	v_mul_f32_e32 v24, v3, v6
	v_mul_f32_e32 v23, v8, v6
	s_cbranch_execz .LBB5_209
	s_branch .LBB5_210
.LBB5_208:                              ;   in Loop: Header=BB5_6 Depth=1
                                        ; implicit-def: $vgpr23
                                        ; implicit-def: $vgpr24
.LBB5_209:                              ;   in Loop: Header=BB5_6 Depth=1
	v_div_scale_f32 v3, null, v4, v4, v5
	v_div_scale_f32 v8, vcc_lo, v5, v4, v5
	s_delay_alu instid0(VALU_DEP_2) | instskip(SKIP_2) | instid1(VALU_DEP_1)
	v_rcp_f32_e32 v6, v3
	s_waitcnt_depctr 0xfff
	v_fma_f32 v7, -v3, v6, 1.0
	v_fmac_f32_e32 v6, v7, v6
	s_delay_alu instid0(VALU_DEP_1) | instskip(NEXT) | instid1(VALU_DEP_1)
	v_mul_f32_e32 v7, v8, v6
	v_fma_f32 v23, -v3, v7, v8
	s_delay_alu instid0(VALU_DEP_1) | instskip(NEXT) | instid1(VALU_DEP_1)
	v_fmac_f32_e32 v7, v23, v6
	v_fma_f32 v3, -v3, v7, v8
	s_delay_alu instid0(VALU_DEP_1) | instskip(NEXT) | instid1(VALU_DEP_1)
	v_div_fmas_f32 v3, v3, v6, v7
	v_div_fixup_f32 v3, v3, v4, v5
	s_delay_alu instid0(VALU_DEP_1) | instskip(NEXT) | instid1(VALU_DEP_1)
	v_fmac_f32_e32 v4, v5, v3
	v_div_scale_f32 v5, null, v4, v4, 1.0
	v_div_scale_f32 v8, vcc_lo, 1.0, v4, 1.0
	s_delay_alu instid0(VALU_DEP_2) | instskip(SKIP_2) | instid1(VALU_DEP_1)
	v_rcp_f32_e32 v6, v5
	s_waitcnt_depctr 0xfff
	v_fma_f32 v7, -v5, v6, 1.0
	v_fmac_f32_e32 v6, v7, v6
	s_delay_alu instid0(VALU_DEP_1) | instskip(NEXT) | instid1(VALU_DEP_1)
	v_mul_f32_e32 v7, v8, v6
	v_fma_f32 v23, -v5, v7, v8
	s_delay_alu instid0(VALU_DEP_1) | instskip(NEXT) | instid1(VALU_DEP_1)
	v_fmac_f32_e32 v7, v23, v6
	v_fma_f32 v5, -v5, v7, v8
	s_delay_alu instid0(VALU_DEP_1) | instskip(SKIP_1) | instid1(VALU_DEP_2)
	v_div_fmas_f32 v5, v5, v6, v7
	v_fma_f32 v6, v3, 0, 1.0
	v_div_fixup_f32 v4, v5, v4, 1.0
	s_delay_alu instid0(VALU_DEP_1)
	v_mul_f32_e32 v23, v6, v4
	v_mul_f32_e64 v24, -v3, v4
.LBB5_210:                              ;   in Loop: Header=BB5_6 Depth=1
	s_add_i32 s9, s8, -2
	s_mov_b32 s37, exec_lo
	v_cmpx_ge_i32_e64 s9, v0
	s_cbranch_execz .LBB5_213
; %bb.211:                              ;   in Loop: Header=BB5_6 Depth=1
	s_add_i32 s5, s8, -1
	v_add_nc_u32_e32 v3, s7, v0
	v_mad_u64_u32 v[5:6], null, s5, s17, v[0:1]
	v_add_nc_u32_e32 v7, s36, v0
	v_mov_b32_e32 v25, v0
	s_delay_alu instid0(VALU_DEP_4)
	v_ashrrev_i32_e32 v4, 31, v3
	s_mul_i32 s7, s8, s17
	s_mov_b32 s38, 0
	v_ashrrev_i32_e32 v8, 31, v7
	v_ashrrev_i32_e32 v6, 31, v5
	v_lshlrev_b64 v[3:4], 3, v[3:4]
	s_delay_alu instid0(VALU_DEP_3) | instskip(NEXT) | instid1(VALU_DEP_3)
	v_lshlrev_b64 v[7:8], 3, v[7:8]
	v_lshlrev_b64 v[5:6], 3, v[5:6]
	s_delay_alu instid0(VALU_DEP_3) | instskip(NEXT) | instid1(VALU_DEP_4)
	v_add_co_u32 v3, vcc_lo, s61, v3
	v_add_co_ci_u32_e32 v4, vcc_lo, s62, v4, vcc_lo
	s_delay_alu instid0(VALU_DEP_3) | instskip(NEXT) | instid1(VALU_DEP_4)
	v_add_co_u32 v5, vcc_lo, s65, v5
	v_add_co_ci_u32_e32 v6, vcc_lo, s66, v6, vcc_lo
	v_add_co_u32 v7, vcc_lo, s61, v7
	v_add_co_ci_u32_e32 v8, vcc_lo, s62, v8, vcc_lo
.LBB5_212:                              ;   Parent Loop BB5_6 Depth=1
                                        ; =>  This Inner Loop Header: Depth=2
	global_load_b64 v[26:27], v[3:4], off offset:-4
	global_load_b64 v[28:29], v[7:8], off offset:-4
	s_waitcnt vmcnt(1)
	v_mul_f32_e32 v30, v1, v27
	v_mul_f32_e32 v27, v9, v27
	s_delay_alu instid0(VALU_DEP_2) | instskip(NEXT) | instid1(VALU_DEP_2)
	v_fmac_f32_e32 v30, v9, v26
	v_fma_f32 v26, v1, v26, -v27
	s_waitcnt vmcnt(0)
	s_delay_alu instid0(VALU_DEP_2) | instskip(NEXT) | instid1(VALU_DEP_2)
	v_sub_f32_e32 v29, v30, v29
	v_sub_f32_e32 v26, v26, v28
	s_delay_alu instid0(VALU_DEP_2) | instskip(NEXT) | instid1(VALU_DEP_2)
	v_mul_f32_e32 v28, v24, v29
	v_mul_f32_e32 v27, v24, v26
	s_delay_alu instid0(VALU_DEP_2) | instskip(NEXT) | instid1(VALU_DEP_2)
	v_fma_f32 v26, v23, v26, -v28
	v_fmac_f32_e32 v27, v23, v29
	global_store_b64 v[5:6], v[26:27], off offset:-4
	global_load_b64 v[26:27], v[7:8], off offset:-4
	global_load_b64 v[28:29], v[3:4], off offset:-4
	s_waitcnt vmcnt(1)
	v_mul_f32_e32 v32, v10, v27
	v_mul_f32_e32 v27, v22, v27
	s_delay_alu instid0(VALU_DEP_2) | instskip(NEXT) | instid1(VALU_DEP_2)
	v_fmac_f32_e32 v32, v22, v26
	v_fma_f32 v26, v10, v26, -v27
	s_waitcnt vmcnt(0)
	s_delay_alu instid0(VALU_DEP_1) | instskip(SKIP_2) | instid1(VALU_DEP_3)
	v_dual_sub_f32 v29, v32, v29 :: v_dual_sub_f32 v26, v26, v28
	v_add_nc_u32_e32 v30, s7, v25
	v_add_nc_u32_e32 v25, 0x100, v25
	v_mul_f32_e32 v28, v24, v29
	s_delay_alu instid0(VALU_DEP_4) | instskip(NEXT) | instid1(VALU_DEP_4)
	v_mul_f32_e32 v27, v24, v26
	v_ashrrev_i32_e32 v31, 31, v30
	s_delay_alu instid0(VALU_DEP_4) | instskip(NEXT) | instid1(VALU_DEP_4)
	v_cmp_lt_i32_e32 vcc_lo, s9, v25
	v_fma_f32 v26, v23, v26, -v28
	s_delay_alu instid0(VALU_DEP_4) | instskip(NEXT) | instid1(VALU_DEP_4)
	v_fmac_f32_e32 v27, v23, v29
	v_lshlrev_b64 v[30:31], 3, v[30:31]
	s_or_b32 s38, vcc_lo, s38
	s_delay_alu instid0(VALU_DEP_1) | instskip(NEXT) | instid1(VALU_DEP_1)
	v_add_co_u32 v30, s5, s16, v30
	v_add_co_ci_u32_e64 v31, s5, s33, v31, s5
	v_add_co_u32 v5, s5, 0x800, v5
	s_delay_alu instid0(VALU_DEP_1) | instskip(SKIP_1) | instid1(VALU_DEP_1)
	v_add_co_ci_u32_e64 v6, s5, 0, v6, s5
	v_add_co_u32 v3, s5, 0x800, v3
	v_add_co_ci_u32_e64 v4, s5, 0, v4, s5
	v_add_co_u32 v7, s5, 0x800, v7
	s_delay_alu instid0(VALU_DEP_1)
	v_add_co_ci_u32_e64 v8, s5, 0, v8, s5
	global_store_b64 v[30:31], v[26:27], off
	s_and_not1_b32 exec_lo, exec_lo, s38
	s_cbranch_execnz .LBB5_212
.LBB5_213:                              ;   in Loop: Header=BB5_6 Depth=1
	s_or_b32 exec_lo, exec_lo, s37
.LBB5_214:                              ;   in Loop: Header=BB5_6 Depth=1
	s_and_saveexec_b32 s5, s2
	s_cbranch_execz .LBB5_216
; %bb.215:                              ;   in Loop: Header=BB5_6 Depth=1
	s_add_i32 s7, s69, -1
	s_add_i32 s9, s8, -1
	s_mul_i32 s7, s7, s18
	s_ashr_i32 s69, s8, 31
	s_ashr_i32 s37, s7, 31
	s_add_u32 s38, s7, s8
	s_addc_u32 s39, s37, s69
	s_delay_alu instid0(SALU_CYCLE_1) | instskip(NEXT) | instid1(SALU_CYCLE_1)
	s_lshl_b64 s[38:39], s[38:39], 3
	s_add_u32 s38, s53, s38
	s_addc_u32 s39, s54, s39
	global_load_b64 v[3:4], v2, s[38:39]
	s_mul_i32 s38, s9, s47
	s_delay_alu instid0(SALU_CYCLE_1) | instskip(NEXT) | instid1(SALU_CYCLE_1)
	s_ashr_i32 s39, s38, 31
	s_lshl_b64 s[38:39], s[38:39], 3
	s_delay_alu instid0(SALU_CYCLE_1)
	s_add_u32 s38, s16, s38
	s_addc_u32 s39, s33, s39
	s_ashr_i32 s7, s36, 31
	s_add_u32 s70, s36, s8
	s_addc_u32 s71, s7, s69
	s_mul_i32 s7, s8, s17
	s_lshl_b64 s[70:71], s[70:71], 3
	s_delay_alu instid0(SALU_CYCLE_1)
	s_add_u32 s70, s53, s70
	s_addc_u32 s71, s54, s71
	s_ashr_i32 s9, s7, 31
	s_waitcnt vmcnt(0)
	global_store_b64 v2, v[3:4], s[38:39]
	global_load_b64 v[3:4], v2, s[70:71]
	s_add_u32 s38, s8, s7
	s_addc_u32 s39, s69, s9
	s_delay_alu instid0(SALU_CYCLE_1) | instskip(NEXT) | instid1(SALU_CYCLE_1)
	s_lshl_b64 s[38:39], s[38:39], 3
	s_add_u32 s38, s55, s38
	s_addc_u32 s39, s56, s39
	s_add_i32 s70, s36, s8
	s_delay_alu instid0(SALU_CYCLE_1) | instskip(NEXT) | instid1(SALU_CYCLE_1)
	s_ashr_i32 s71, s70, 31
	s_lshl_b64 s[70:71], s[70:71], 3
	s_delay_alu instid0(SALU_CYCLE_1)
	s_add_u32 s70, s43, s70
	s_addc_u32 s71, s44, s71
	s_waitcnt vmcnt(0)
	global_store_b64 v2, v[3:4], s[38:39]
	global_load_b64 v[3:4], v2, s[70:71]
	s_add_i32 s38, s7, s8
	s_delay_alu instid0(SALU_CYCLE_1) | instskip(NEXT) | instid1(SALU_CYCLE_1)
	s_ashr_i32 s39, s38, 31
	s_lshl_b64 s[38:39], s[38:39], 3
	s_delay_alu instid0(SALU_CYCLE_1)
	s_add_u32 s38, s16, s38
	s_addc_u32 s39, s33, s39
	s_waitcnt vmcnt(0)
	global_store_b64 v2, v[3:4], s[38:39]
.LBB5_216:                              ;   in Loop: Header=BB5_6 Depth=1
	s_or_b32 exec_lo, exec_lo, s5
	s_mov_b32 s5, 0
	s_mov_b32 s7, -2
	s_waitcnt_vscnt null, 0x0
	s_barrier
	buffer_gl0_inv
	s_branch .LBB5_194
.LBB5_217:                              ;   in Loop: Header=BB5_6 Depth=1
	s_add_i32 s38, s36, s8
	s_delay_alu instid0(SALU_CYCLE_1) | instskip(NEXT) | instid1(SALU_CYCLE_1)
	s_ashr_i32 s39, s38, 31
	s_lshl_b64 s[38:39], s[38:39], 3
	s_delay_alu instid0(SALU_CYCLE_1)
	s_add_u32 s38, s43, s38
	s_addc_u32 s39, s44, s39
	global_load_b64 v[3:4], v2, s[38:39]
	s_waitcnt vmcnt(0)
	v_cmp_gt_f32_e32 vcc_lo, 0, v3
	v_cndmask_b32_e64 v1, v3, -v3, vcc_lo
	v_cmp_gt_f32_e32 vcc_lo, 0, v4
	v_cndmask_b32_e64 v5, v4, -v4, vcc_lo
	s_delay_alu instid0(VALU_DEP_1)
	v_cmp_ngt_f32_e32 vcc_lo, v1, v5
	s_cbranch_vccz .LBB5_219
; %bb.218:                              ;   in Loop: Header=BB5_6 Depth=1
	v_div_scale_f32 v1, null, v4, v4, v3
	v_div_scale_f32 v7, vcc_lo, v3, v4, v3
	s_delay_alu instid0(VALU_DEP_2) | instskip(SKIP_2) | instid1(VALU_DEP_1)
	v_rcp_f32_e32 v5, v1
	s_waitcnt_depctr 0xfff
	v_fma_f32 v6, -v1, v5, 1.0
	v_fmac_f32_e32 v5, v6, v5
	s_delay_alu instid0(VALU_DEP_1) | instskip(NEXT) | instid1(VALU_DEP_1)
	v_mul_f32_e32 v6, v7, v5
	v_fma_f32 v8, -v1, v6, v7
	s_delay_alu instid0(VALU_DEP_1) | instskip(NEXT) | instid1(VALU_DEP_1)
	v_fmac_f32_e32 v6, v8, v5
	v_fma_f32 v1, -v1, v6, v7
	s_delay_alu instid0(VALU_DEP_1) | instskip(NEXT) | instid1(VALU_DEP_1)
	v_div_fmas_f32 v1, v1, v5, v6
	v_div_fixup_f32 v1, v1, v4, v3
	s_delay_alu instid0(VALU_DEP_1) | instskip(NEXT) | instid1(VALU_DEP_1)
	v_fma_f32 v5, v3, v1, v4
	v_div_scale_f32 v6, null, v5, v5, 1.0
	v_div_scale_f32 v9, vcc_lo, 1.0, v5, 1.0
	s_delay_alu instid0(VALU_DEP_2) | instskip(SKIP_2) | instid1(VALU_DEP_1)
	v_rcp_f32_e32 v7, v6
	s_waitcnt_depctr 0xfff
	v_fma_f32 v8, -v6, v7, 1.0
	v_fmac_f32_e32 v7, v8, v7
	s_delay_alu instid0(VALU_DEP_1) | instskip(NEXT) | instid1(VALU_DEP_1)
	v_mul_f32_e32 v8, v9, v7
	v_fma_f32 v10, -v6, v8, v9
	s_delay_alu instid0(VALU_DEP_1) | instskip(NEXT) | instid1(VALU_DEP_1)
	v_fmac_f32_e32 v8, v10, v7
	v_fma_f32 v6, -v6, v8, v9
	s_delay_alu instid0(VALU_DEP_1) | instskip(SKIP_1) | instid1(VALU_DEP_2)
	v_div_fmas_f32 v6, v6, v7, v8
	v_add_f32_e32 v7, 0, v1
	v_div_fixup_f32 v5, v6, v5, 1.0
	v_fma_f32 v6, v1, 0, -1.0
	s_delay_alu instid0(VALU_DEP_2) | instskip(NEXT) | instid1(VALU_DEP_2)
	v_mul_f32_e32 v1, v7, v5
	v_mul_f32_e32 v7, v6, v5
	s_cbranch_execz .LBB5_220
	s_branch .LBB5_221
.LBB5_219:                              ;   in Loop: Header=BB5_6 Depth=1
                                        ; implicit-def: $vgpr1
                                        ; implicit-def: $vgpr7
.LBB5_220:                              ;   in Loop: Header=BB5_6 Depth=1
	v_div_scale_f32 v1, null, v3, v3, v4
	v_div_scale_f32 v7, vcc_lo, v4, v3, v4
	s_delay_alu instid0(VALU_DEP_2) | instskip(SKIP_2) | instid1(VALU_DEP_1)
	v_rcp_f32_e32 v5, v1
	s_waitcnt_depctr 0xfff
	v_fma_f32 v6, -v1, v5, 1.0
	v_fmac_f32_e32 v5, v6, v5
	s_delay_alu instid0(VALU_DEP_1) | instskip(NEXT) | instid1(VALU_DEP_1)
	v_mul_f32_e32 v6, v7, v5
	v_fma_f32 v8, -v1, v6, v7
	s_delay_alu instid0(VALU_DEP_1) | instskip(NEXT) | instid1(VALU_DEP_1)
	v_fmac_f32_e32 v6, v8, v5
	v_fma_f32 v1, -v1, v6, v7
	s_delay_alu instid0(VALU_DEP_1) | instskip(NEXT) | instid1(VALU_DEP_1)
	v_div_fmas_f32 v1, v1, v5, v6
	v_div_fixup_f32 v5, v1, v3, v4
	s_delay_alu instid0(VALU_DEP_1) | instskip(NEXT) | instid1(VALU_DEP_1)
	v_fmac_f32_e32 v3, v4, v5
	v_div_scale_f32 v1, null, v3, v3, 1.0
	s_delay_alu instid0(VALU_DEP_1) | instskip(SKIP_2) | instid1(VALU_DEP_1)
	v_rcp_f32_e32 v4, v1
	s_waitcnt_depctr 0xfff
	v_fma_f32 v6, -v1, v4, 1.0
	v_fmac_f32_e32 v4, v6, v4
	v_div_scale_f32 v7, vcc_lo, 1.0, v3, 1.0
	s_delay_alu instid0(VALU_DEP_1) | instskip(NEXT) | instid1(VALU_DEP_1)
	v_mul_f32_e32 v6, v7, v4
	v_fma_f32 v8, -v1, v6, v7
	s_delay_alu instid0(VALU_DEP_1) | instskip(NEXT) | instid1(VALU_DEP_1)
	v_fmac_f32_e32 v6, v8, v4
	v_fma_f32 v1, -v1, v6, v7
	s_delay_alu instid0(VALU_DEP_1) | instskip(SKIP_1) | instid1(VALU_DEP_2)
	v_div_fmas_f32 v1, v1, v4, v6
	v_fma_f32 v4, v5, 0, 1.0
	v_div_fixup_f32 v3, v1, v3, 1.0
	s_delay_alu instid0(VALU_DEP_1)
	v_mul_f32_e32 v1, v4, v3
	v_mul_f32_e64 v7, -v5, v3
.LBB5_221:                              ;   in Loop: Header=BB5_6 Depth=1
	s_and_saveexec_b32 s5, s2
	s_cbranch_execnz .LBB5_223
; %bb.222:                              ;   in Loop: Header=BB5_6 Depth=1
	s_or_b32 exec_lo, exec_lo, s5
	s_and_saveexec_b32 s5, s4
	s_cbranch_execnz .LBB5_224
	s_branch .LBB5_226
.LBB5_223:                              ;   in Loop: Header=BB5_6 Depth=1
	global_load_b64 v[3:4], v2, s[38:39]
	s_mul_i32 s38, s8, s47
	s_delay_alu instid0(SALU_CYCLE_1) | instskip(NEXT) | instid1(SALU_CYCLE_1)
	s_ashr_i32 s39, s38, 31
	s_lshl_b64 s[38:39], s[38:39], 3
	s_delay_alu instid0(SALU_CYCLE_1)
	s_add_u32 s38, s16, s38
	s_addc_u32 s39, s33, s39
	s_waitcnt vmcnt(0)
	global_store_b64 v2, v[3:4], s[38:39]
	s_or_b32 exec_lo, exec_lo, s5
	s_and_saveexec_b32 s5, s4
	s_cbranch_execz .LBB5_226
.LBB5_224:                              ;   in Loop: Header=BB5_6 Depth=1
	v_dual_mov_b32 v8, v0 :: v_dual_add_nc_u32 v3, s36, v0
	v_mad_u64_u32 v[5:6], null, s8, s17, v[0:1]
	s_mov_b32 s7, 0
	s_delay_alu instid0(VALU_DEP_2) | instskip(NEXT) | instid1(VALU_DEP_2)
	v_ashrrev_i32_e32 v4, 31, v3
	v_ashrrev_i32_e32 v6, 31, v5
	s_delay_alu instid0(VALU_DEP_2) | instskip(NEXT) | instid1(VALU_DEP_2)
	v_lshlrev_b64 v[3:4], 3, v[3:4]
	v_lshlrev_b64 v[5:6], 3, v[5:6]
	s_delay_alu instid0(VALU_DEP_2) | instskip(NEXT) | instid1(VALU_DEP_3)
	v_add_co_u32 v3, vcc_lo, s61, v3
	v_add_co_ci_u32_e32 v4, vcc_lo, s62, v4, vcc_lo
	s_delay_alu instid0(VALU_DEP_3) | instskip(NEXT) | instid1(VALU_DEP_4)
	v_add_co_u32 v5, vcc_lo, s65, v5
	v_add_co_ci_u32_e32 v6, vcc_lo, s66, v6, vcc_lo
	.p2align	6
.LBB5_225:                              ;   Parent Loop BB5_6 Depth=1
                                        ; =>  This Inner Loop Header: Depth=2
	global_load_b64 v[9:10], v[3:4], off offset:-4
	v_add_nc_u32_e32 v8, 0x100, v8
	v_add_co_u32 v3, vcc_lo, 0x800, v3
	v_add_co_ci_u32_e32 v4, vcc_lo, 0, v4, vcc_lo
	s_waitcnt vmcnt(0)
	v_mul_f32_e32 v23, v1, v10
	v_mul_f32_e32 v22, v7, v10
	v_cmp_le_i32_e32 vcc_lo, s8, v8
	s_delay_alu instid0(VALU_DEP_3) | instskip(NEXT) | instid1(VALU_DEP_3)
	v_fmac_f32_e32 v23, v7, v9
	v_fma_f32 v22, v1, v9, -v22
	s_or_b32 s7, vcc_lo, s7
	global_store_b64 v[5:6], v[22:23], off offset:-4
	v_add_co_u32 v5, s4, 0x800, v5
	s_delay_alu instid0(VALU_DEP_1)
	v_add_co_ci_u32_e64 v6, s4, 0, v6, s4
	s_and_not1_b32 exec_lo, exec_lo, s7
	s_cbranch_execnz .LBB5_225
.LBB5_226:                              ;   in Loop: Header=BB5_6 Depth=1
	s_or_b32 exec_lo, exec_lo, s5
	s_mov_b32 s5, -1
	s_mov_b32 s7, -1
	s_waitcnt_vscnt null, 0x0
	s_barrier
	buffer_gl0_inv
	s_branch .LBB5_195
.LBB5_227:                              ;   in Loop: Header=BB5_6 Depth=1
	ds_load_b32 v1, v2 offset:2052
	s_waitcnt lgkmcnt(0)
	v_readfirstlane_b32 s4, v1
	s_delay_alu instid0(VALU_DEP_1) | instskip(SKIP_1) | instid1(SALU_CYCLE_1)
	s_cmp_eq_u32 s4, 0
	s_cselect_b32 s4, -1, 0
	s_and_b32 s5, s2, s4
	s_delay_alu instid0(SALU_CYCLE_1)
	s_and_saveexec_b32 s4, s5
	s_cbranch_execz .LBB5_229
; %bb.228:                              ;   in Loop: Header=BB5_6 Depth=1
	s_add_i32 s5, s8, 1
	s_delay_alu instid0(SALU_CYCLE_1)
	v_mov_b32_e32 v1, s5
	ds_store_b32 v2, v1 offset:2052
.LBB5_229:                              ;   in Loop: Header=BB5_6 Depth=1
	s_or_b32 exec_lo, exec_lo, s4
	s_mov_b32 s7, -1
	s_mov_b32 s5, -1
	s_mov_b32 s6, s8
	s_and_saveexec_b32 s36, s2
	s_cbranch_execz .LBB5_4
.LBB5_230:                              ;   in Loop: Header=BB5_6 Depth=1
	s_mov_b32 s9, s67
	s_delay_alu instid0(SALU_CYCLE_1)
	s_lshl_b64 s[38:39], s[8:9], 2
	s_xor_b32 s9, s5, -1
	s_add_u32 s4, s40, s38
	s_addc_u32 s5, s41, s39
	s_and_b32 vcc_lo, exec_lo, s9
	s_mov_b32 s9, -1
	s_cbranch_vccz .LBB5_232
; %bb.231:                              ;   in Loop: Header=BB5_6 Depth=1
	s_not_b32 s9, s6
	s_delay_alu instid0(SALU_CYCLE_1)
	v_dual_mov_b32 v3, s9 :: v_dual_mov_b32 v4, s9
	s_mov_b32 s9, 0
	global_store_b64 v2, v[3:4], s[4:5] offset:-4
.LBB5_232:                              ;   in Loop: Header=BB5_6 Depth=1
	s_and_not1_b32 vcc_lo, exec_lo, s9
	s_cbranch_vccnz .LBB5_4
; %bb.233:                              ;   in Loop: Header=BB5_6 Depth=1
	s_add_i32 s6, s6, 1
	s_delay_alu instid0(SALU_CYCLE_1)
	v_mov_b32_e32 v1, s6
	global_store_b32 v2, v1, s[4:5]
	s_branch .LBB5_4
.LBB5_234:
	s_add_i32 s0, s69, 1
.LBB5_235:
	s_and_saveexec_b32 s1, s2
	s_cbranch_execz .LBB5_237
; %bb.236:
	v_mov_b32_e32 v1, 0
	s_lshl_b64 s[2:3], s[26:27], 2
	s_delay_alu instid0(SALU_CYCLE_1)
	s_add_u32 s4, s12, s2
	s_addc_u32 s5, s13, s3
	ds_load_b32 v2, v1 offset:2052
	s_add_u32 s2, s10, s2
	s_addc_u32 s3, s11, s3
	s_not_b32 s6, s8
	s_delay_alu instid0(SALU_CYCLE_1) | instskip(NEXT) | instid1(SALU_CYCLE_1)
	s_add_i32 s6, s6, s18
	v_mov_b32_e32 v3, s6
	global_store_b32 v1, v3, s[4:5]
	s_waitcnt lgkmcnt(0)
	global_store_b32 v1, v2, s[2:3]
.LBB5_237:
	s_or_b32 exec_lo, exec_lo, s1
	s_abs_i32 s1, s19
	s_abs_i32 s4, s8
	v_cvt_f32_u32_e32 v1, s1
	s_sub_i32 s3, 0, s1
	s_mov_b32 s5, 0
	s_delay_alu instid0(VALU_DEP_1) | instskip(SKIP_2) | instid1(VALU_DEP_1)
	v_rcp_iflag_f32_e32 v1, v1
	s_waitcnt_depctr 0xfff
	v_mul_f32_e32 v1, 0x4f7ffffe, v1
	v_cvt_u32_f32_e32 v1, v1
	s_delay_alu instid0(VALU_DEP_1) | instskip(NEXT) | instid1(VALU_DEP_1)
	v_readfirstlane_b32 s2, v1
	s_mul_i32 s3, s3, s2
	s_delay_alu instid0(SALU_CYCLE_1) | instskip(NEXT) | instid1(SALU_CYCLE_1)
	s_mul_hi_u32 s3, s2, s3
	s_add_i32 s2, s2, s3
	s_ashr_i32 s3, s8, 31
	s_mul_hi_u32 s2, s4, s2
	s_delay_alu instid0(SALU_CYCLE_1) | instskip(NEXT) | instid1(SALU_CYCLE_1)
	s_mul_i32 s2, s2, s1
	s_sub_i32 s2, s4, s2
	s_delay_alu instid0(SALU_CYCLE_1) | instskip(SKIP_2) | instid1(SALU_CYCLE_1)
	s_sub_i32 s4, s2, s1
	s_cmp_ge_u32 s2, s1
	s_cselect_b32 s2, s4, s2
	s_sub_i32 s4, s2, s1
	s_cmp_ge_u32 s2, s1
	s_cselect_b32 s1, s4, s2
	s_add_i32 s2, s8, 1
	s_xor_b32 s1, s1, s3
	s_delay_alu instid0(SALU_CYCLE_1) | instskip(NEXT) | instid1(SALU_CYCLE_1)
	s_sub_i32 s1, s3, s1
	s_add_i32 s4, s8, s1
	s_delay_alu instid0(SALU_CYCLE_1)
	s_cmp_lt_i32 s4, 0
	s_cbranch_scc1 .LBB5_255
; %bb.238:
	s_mul_i32 s0, s0, s18
	s_not_b32 s3, s8
	s_ashr_i32 s1, s0, 31
	s_mul_i32 s6, s2, s17
	s_lshl_b64 s[0:1], s[0:1], 3
	s_add_i32 s3, s3, s18
	s_ashr_i32 s7, s6, 31
	s_add_u32 s12, s43, s0
	s_addc_u32 s13, s44, s1
	s_cmp_gt_i32 s3, 0
	v_mov_b32_e32 v2, 0
	s_cselect_b32 s26, -1, 0
	s_lshl_b64 s[8:9], s[6:7], 3
	s_delay_alu instid0(SALU_CYCLE_1)
	s_add_u32 s27, s16, s8
	s_addc_u32 s30, s33, s9
	s_add_u32 s0, s28, s0
	s_addc_u32 s1, s29, s1
	;; [unrolled: 2-line block ×4, first 2 shown]
	s_ashr_i32 s1, s18, 31
	s_mov_b32 s0, s18
	s_delay_alu instid0(SALU_CYCLE_1)
	s_lshl_b64 s[6:7], s[0:1], 3
	s_add_u32 s0, s22, s24
	s_addc_u32 s1, s23, s25
	s_add_u32 s0, s0, s8
	s_addc_u32 s1, s1, s9
	;; [unrolled: 2-line block ×3, first 2 shown]
	v_add_co_u32 v9, s0, s0, v12
	s_delay_alu instid0(VALU_DEP_1) | instskip(SKIP_2) | instid1(SALU_CYCLE_1)
	v_add_co_ci_u32_e64 v10, null, s1, 0, s0
	s_ashr_i32 s1, s17, 31
	s_mov_b32 s0, s17
	s_lshl_b64 s[8:9], s[0:1], 3
	s_branch .LBB5_240
.LBB5_239:                              ;   in Loop: Header=BB5_240 Depth=1
	s_or_b32 exec_lo, exec_lo, s0
	s_sub_i32 s4, s4, s19
	s_delay_alu instid0(SALU_CYCLE_1)
	s_cmp_gt_i32 s4, -1
	s_cbranch_scc0 .LBB5_255
.LBB5_240:                              ; =>This Loop Header: Depth=1
                                        ;     Child Loop BB5_243 Depth 2
                                        ;       Child Loop BB5_246 Depth 3
                                        ;         Child Loop BB5_248 Depth 4
                                        ;     Child Loop BB5_252 Depth 2
                                        ;       Child Loop BB5_254 Depth 3
	s_sub_i32 s0, s2, s4
	s_delay_alu instid0(SALU_CYCLE_1) | instskip(NEXT) | instid1(SALU_CYCLE_1)
	s_min_i32 s14, s0, s19
	s_cmp_lt_i32 s14, 1
	s_cbranch_scc1 .LBB5_249
; %bb.241:                              ;   in Loop: Header=BB5_240 Depth=1
	s_lshl_b64 s[0:1], s[4:5], 3
	s_mov_b32 s24, s4
	v_add_co_u32 v3, vcc_lo, v9, s0
	s_add_u32 s10, s20, s0
	v_add_co_ci_u32_e32 v4, vcc_lo, s1, v10, vcc_lo
	s_addc_u32 s11, s21, s1
	s_add_i32 s15, s14, s4
	s_add_u32 s22, s16, s0
	s_addc_u32 s23, s33, s1
	s_branch .LBB5_243
.LBB5_242:                              ;   in Loop: Header=BB5_243 Depth=2
	s_or_b32 exec_lo, exec_lo, s28
	s_add_i32 s24, s24, 1
	s_add_u32 s10, s10, 8
	s_addc_u32 s11, s11, 0
	s_cmp_lt_i32 s24, s15
	s_cbranch_scc0 .LBB5_249
.LBB5_243:                              ;   Parent Loop BB5_240 Depth=1
                                        ; =>  This Loop Header: Depth=2
                                        ;       Child Loop BB5_246 Depth 3
                                        ;         Child Loop BB5_248 Depth 4
	s_sub_i32 s25, s24, s4
	s_mov_b32 s28, exec_lo
	v_cmpx_ge_i32_e64 s25, v0
	s_cbranch_execz .LBB5_242
; %bb.244:                              ;   in Loop: Header=BB5_243 Depth=2
	s_mul_i32 s0, s24, s17
	v_dual_mov_b32 v6, v4 :: v_dual_mov_b32 v5, v3
	s_ashr_i32 s1, s0, 31
	v_mov_b32_e32 v1, v0
	s_lshl_b64 s[0:1], s[0:1], 3
	s_mov_b32 s34, 0
	s_add_u32 s29, s22, s0
	s_addc_u32 s31, s23, s1
	s_branch .LBB5_246
.LBB5_245:                              ;   in Loop: Header=BB5_246 Depth=3
	v_lshlrev_b64 v[7:8], 3, v[1:2]
	s_delay_alu instid0(VALU_DEP_2) | instskip(SKIP_2) | instid1(VALU_DEP_1)
	v_fma_f32 v16, 0x80000000, v12, -v13
	v_fma_f32 v13, v13, 0, -v12
	v_add_co_u32 v5, s0, 0x800, v5
	v_add_co_ci_u32_e64 v6, s0, 0, v6, s0
	v_add_co_u32 v7, vcc_lo, s29, v7
	v_add_co_ci_u32_e32 v8, vcc_lo, s31, v8, vcc_lo
	global_load_b64 v[14:15], v[7:8], off
	s_waitcnt vmcnt(0)
	v_dual_fmamk_f32 v12, v15, 0x80000000, v14 :: v_dual_fmac_f32 v15, 0, v14
	s_delay_alu instid0(VALU_DEP_1) | instskip(NEXT) | instid1(VALU_DEP_2)
	v_dual_add_f32 v12, v16, v12 :: v_dual_add_nc_u32 v1, 0x100, v1
	v_add_f32_e32 v13, v13, v15
	s_delay_alu instid0(VALU_DEP_2) | instskip(SKIP_2) | instid1(SALU_CYCLE_1)
	v_cmp_lt_i32_e32 vcc_lo, s25, v1
	global_store_b64 v[7:8], v[12:13], off
	s_or_b32 s34, vcc_lo, s34
	s_and_not1_b32 exec_lo, exec_lo, s34
	s_cbranch_execz .LBB5_242
.LBB5_246:                              ;   Parent Loop BB5_240 Depth=1
                                        ;     Parent Loop BB5_243 Depth=2
                                        ; =>    This Loop Header: Depth=3
                                        ;         Child Loop BB5_248 Depth 4
	v_dual_mov_b32 v12, 0 :: v_dual_mov_b32 v13, 0
	s_and_not1_b32 vcc_lo, exec_lo, s26
	s_cbranch_vccnz .LBB5_245
; %bb.247:                              ;   in Loop: Header=BB5_246 Depth=3
	v_dual_mov_b32 v8, v6 :: v_dual_mov_b32 v13, 0
	v_dual_mov_b32 v12, 0 :: v_dual_mov_b32 v7, v5
	s_mov_b64 s[0:1], s[10:11]
	s_mov_b32 s35, s3
	.p2align	6
.LBB5_248:                              ;   Parent Loop BB5_240 Depth=1
                                        ;     Parent Loop BB5_243 Depth=2
                                        ;       Parent Loop BB5_246 Depth=3
                                        ; =>      This Inner Loop Header: Depth=4
	global_load_b64 v[14:15], v[7:8], off
	global_load_b64 v[16:17], v2, s[0:1] offset:-4
	v_add_co_u32 v7, vcc_lo, v7, s8
	s_add_i32 s35, s35, -1
	v_add_co_ci_u32_e32 v8, vcc_lo, s9, v8, vcc_lo
	s_add_u32 s0, s0, s6
	s_addc_u32 s1, s1, s7
	s_cmp_eq_u32 s35, 0
	s_waitcnt vmcnt(0)
	v_mul_f32_e32 v18, v17, v15
	v_mul_f32_e32 v15, v16, v15
	s_delay_alu instid0(VALU_DEP_2) | instskip(NEXT) | instid1(VALU_DEP_2)
	v_fma_f32 v16, v16, v14, -v18
	v_fmac_f32_e32 v15, v17, v14
	s_delay_alu instid0(VALU_DEP_1)
	v_dual_add_f32 v13, v13, v16 :: v_dual_add_f32 v12, v12, v15
	s_cbranch_scc0 .LBB5_248
	s_branch .LBB5_245
.LBB5_249:                              ;   in Loop: Header=BB5_240 Depth=1
	s_mul_i32 s14, s14, s4
	s_mov_b32 s0, exec_lo
	v_cmpx_gt_i32_e64 s14, v0
	s_cbranch_execz .LBB5_239
; %bb.250:                              ;   in Loop: Header=BB5_240 Depth=1
	s_lshl_b64 s[10:11], s[4:5], 3
	s_mul_i32 s22, s4, s17
	s_add_u32 s1, s12, s10
	s_addc_u32 s10, s13, s11
	s_ashr_i32 s23, s22, 31
	s_mov_b32 s24, 0
	s_lshl_b64 s[22:23], s[22:23], 3
	v_mov_b32_e32 v8, v0
	s_add_u32 s11, s16, s22
	s_addc_u32 s15, s33, s23
	s_abs_i32 s22, s4
	s_delay_alu instid0(SALU_CYCLE_1) | instskip(SKIP_1) | instid1(VALU_DEP_1)
	v_cvt_f32_u32_e32 v1, s22
	s_sub_i32 s23, 0, s22
	v_rcp_iflag_f32_e32 v1, v1
	s_waitcnt_depctr 0xfff
	v_mul_f32_e32 v1, 0x4f7ffffe, v1
	s_delay_alu instid0(VALU_DEP_1) | instskip(NEXT) | instid1(VALU_DEP_1)
	v_cvt_u32_f32_e32 v1, v1
	v_mul_lo_u32 v3, s23, v1
	s_ashr_i32 s23, s4, 31
	s_delay_alu instid0(VALU_DEP_1) | instskip(NEXT) | instid1(VALU_DEP_1)
	v_mul_hi_u32 v3, v1, v3
	v_add_nc_u32_e32 v7, v1, v3
	s_branch .LBB5_252
.LBB5_251:                              ;   in Loop: Header=BB5_252 Depth=2
	s_delay_alu instid0(VALU_DEP_1) | instskip(NEXT) | instid1(VALU_DEP_2)
	v_mad_u64_u32 v[3:4], null, v13, s17, v[1:2]
	v_fma_f32 v1, 0x80000000, v12, -v14
	v_fma_f32 v12, v14, 0, -v12
	s_delay_alu instid0(VALU_DEP_3) | instskip(NEXT) | instid1(VALU_DEP_1)
	v_ashrrev_i32_e32 v4, 31, v3
	v_lshlrev_b64 v[3:4], 3, v[3:4]
	s_delay_alu instid0(VALU_DEP_1) | instskip(NEXT) | instid1(VALU_DEP_2)
	v_add_co_u32 v3, vcc_lo, s11, v3
	v_add_co_ci_u32_e32 v4, vcc_lo, s15, v4, vcc_lo
	global_load_b64 v[5:6], v[3:4], off
	s_waitcnt vmcnt(0)
	v_dual_fmamk_f32 v13, v6, 0x80000000, v5 :: v_dual_fmac_f32 v6, 0, v5
	s_delay_alu instid0(VALU_DEP_1) | instskip(NEXT) | instid1(VALU_DEP_2)
	v_dual_add_f32 v5, v1, v13 :: v_dual_add_nc_u32 v8, 0x100, v8
	v_add_f32_e32 v6, v12, v6
	s_delay_alu instid0(VALU_DEP_2) | instskip(SKIP_2) | instid1(SALU_CYCLE_1)
	v_cmp_le_i32_e32 vcc_lo, s14, v8
	global_store_b64 v[3:4], v[5:6], off
	s_or_b32 s24, vcc_lo, s24
	s_and_not1_b32 exec_lo, exec_lo, s24
	s_cbranch_execz .LBB5_239
.LBB5_252:                              ;   Parent Loop BB5_240 Depth=1
                                        ; =>  This Loop Header: Depth=2
                                        ;       Child Loop BB5_254 Depth 3
	s_delay_alu instid0(VALU_DEP_1) | instskip(SKIP_2) | instid1(VALU_DEP_3)
	v_mul_hi_u32 v1, v8, v7
	v_mov_b32_e32 v12, 0
	v_mov_b32_e32 v14, 0
	v_mul_lo_u32 v3, v1, s22
	v_add_nc_u32_e32 v4, 1, v1
	s_delay_alu instid0(VALU_DEP_2) | instskip(NEXT) | instid1(VALU_DEP_1)
	v_sub_nc_u32_e32 v3, v8, v3
	v_subrev_nc_u32_e32 v5, s22, v3
	v_cmp_le_u32_e32 vcc_lo, s22, v3
	s_delay_alu instid0(VALU_DEP_4) | instskip(NEXT) | instid1(VALU_DEP_3)
	v_cndmask_b32_e32 v1, v1, v4, vcc_lo
	v_cndmask_b32_e32 v3, v3, v5, vcc_lo
	s_delay_alu instid0(VALU_DEP_2) | instskip(NEXT) | instid1(VALU_DEP_2)
	v_add_nc_u32_e32 v4, 1, v1
	v_cmp_le_u32_e32 vcc_lo, s22, v3
	s_delay_alu instid0(VALU_DEP_2) | instskip(SKIP_1) | instid1(VALU_DEP_1)
	v_cndmask_b32_e32 v1, v1, v4, vcc_lo
	s_and_not1_b32 vcc_lo, exec_lo, s26
	v_xor_b32_e32 v1, s23, v1
	s_delay_alu instid0(VALU_DEP_1) | instskip(NEXT) | instid1(VALU_DEP_1)
	v_subrev_nc_u32_e32 v13, s23, v1
	v_mul_lo_u32 v1, v13, s4
	s_delay_alu instid0(VALU_DEP_1)
	v_sub_nc_u32_e32 v1, v8, v1
	s_cbranch_vccnz .LBB5_251
; %bb.253:                              ;   in Loop: Header=BB5_252 Depth=2
	s_delay_alu instid0(VALU_DEP_1)
	v_dual_mov_b32 v12, 0 :: v_dual_mov_b32 v3, v1
	v_dual_mov_b32 v5, v13 :: v_dual_mov_b32 v14, 0
	s_mov_b32 s25, s3
	.p2align	6
.LBB5_254:                              ;   Parent Loop BB5_240 Depth=1
                                        ;     Parent Loop BB5_252 Depth=2
                                        ; =>    This Inner Loop Header: Depth=3
	s_delay_alu instid0(VALU_DEP_2) | instskip(NEXT) | instid1(VALU_DEP_2)
	v_ashrrev_i32_e32 v4, 31, v3
	v_ashrrev_i32_e32 v6, 31, v5
	s_add_i32 s25, s25, -1
	s_delay_alu instid0(SALU_CYCLE_1) | instskip(NEXT) | instid1(VALU_DEP_2)
	s_cmp_eq_u32 s25, 0
	v_lshlrev_b64 v[15:16], 3, v[3:4]
	s_delay_alu instid0(VALU_DEP_2) | instskip(SKIP_2) | instid1(VALU_DEP_4)
	v_lshlrev_b64 v[17:18], 3, v[5:6]
	v_add_nc_u32_e32 v5, s18, v5
	v_add_nc_u32_e32 v3, s17, v3
	v_add_co_u32 v15, vcc_lo, s27, v15
	v_add_co_ci_u32_e32 v16, vcc_lo, s30, v16, vcc_lo
	v_add_co_u32 v17, vcc_lo, s1, v17
	v_add_co_ci_u32_e32 v18, vcc_lo, s10, v18, vcc_lo
	global_load_b64 v[15:16], v[15:16], off
	global_load_b64 v[17:18], v[17:18], off
	s_waitcnt vmcnt(0)
	v_mul_f32_e32 v4, v18, v16
	v_mul_f32_e32 v6, v17, v16
	s_delay_alu instid0(VALU_DEP_2) | instskip(NEXT) | instid1(VALU_DEP_2)
	v_fma_f32 v4, v17, v15, -v4
	v_fmac_f32_e32 v6, v18, v15
	s_delay_alu instid0(VALU_DEP_2) | instskip(NEXT) | instid1(VALU_DEP_2)
	v_add_f32_e32 v14, v14, v4
	v_add_f32_e32 v12, v12, v6
	s_cbranch_scc0 .LBB5_254
	s_branch .LBB5_251
.LBB5_255:
	s_cmp_ge_i32 s2, s42
	s_waitcnt lgkmcnt(0)
	s_waitcnt_vscnt null, 0x0
	s_barrier
	buffer_gl0_inv
	s_cbranch_scc1 .LBB5_263
; %bb.256:
	v_mov_b32_e32 v1, 0
	s_lshl_b32 s0, s17, 8
	s_branch .LBB5_259
.LBB5_257:                              ;   in Loop: Header=BB5_259 Depth=1
	s_or_b32 exec_lo, exec_lo, s5
	s_waitcnt_vscnt null, 0x0
	s_barrier
	buffer_gl0_inv
.LBB5_258:                              ;   in Loop: Header=BB5_259 Depth=1
	s_cmp_lt_i32 s1, s42
	s_mov_b32 s2, s1
	s_cbranch_scc0 .LBB5_263
.LBB5_259:                              ; =>This Loop Header: Depth=1
                                        ;     Child Loop BB5_262 Depth 2
	s_ashr_i32 s3, s2, 31
	s_delay_alu instid0(SALU_CYCLE_1) | instskip(NEXT) | instid1(SALU_CYCLE_1)
	s_lshl_b64 s[4:5], s[2:3], 2
	s_add_u32 s4, s40, s4
	s_addc_u32 s5, s41, s5
	global_load_b32 v2, v1, s[4:5]
	s_waitcnt vmcnt(0)
	v_readfirstlane_b32 s1, v2
	s_delay_alu instid0(VALU_DEP_1) | instskip(SKIP_4) | instid1(SALU_CYCLE_1)
	s_not_b32 s3, s1
	s_add_i32 s4, s1, -1
	s_cmp_lt_i32 s1, 0
	s_cselect_b32 s3, s3, s4
	s_lshr_b32 s6, s1, 31
	s_add_i32 s1, s2, s6
	s_delay_alu instid0(SALU_CYCLE_1) | instskip(SKIP_4) | instid1(SALU_CYCLE_1)
	s_add_i32 s1, s1, 1
	s_cmp_eq_u32 s3, s2
	s_cselect_b32 s4, -1, 0
	s_cmp_le_i32 s18, s1
	s_cselect_b32 s5, -1, 0
	s_or_b32 s4, s4, s5
	s_delay_alu instid0(SALU_CYCLE_1)
	s_and_b32 vcc_lo, exec_lo, s4
	s_cbranch_vccnz .LBB5_258
; %bb.260:                              ;   in Loop: Header=BB5_259 Depth=1
	s_sub_i32 s4, s18, s1
	s_mov_b32 s5, exec_lo
	v_cmpx_gt_i32_e64 s4, v0
	s_cbranch_execz .LBB5_257
; %bb.261:                              ;   in Loop: Header=BB5_259 Depth=1
	v_add3_u32 v2, s6, s2, v11
	v_mov_b32_e32 v3, v0
	s_mov_b32 s6, 0
	s_delay_alu instid0(VALU_DEP_2)
	v_mul_lo_u32 v2, s17, v2
	.p2align	6
.LBB5_262:                              ;   Parent Loop BB5_259 Depth=1
                                        ; =>  This Inner Loop Header: Depth=2
	s_delay_alu instid0(VALU_DEP_1) | instskip(SKIP_3) | instid1(VALU_DEP_4)
	v_add_nc_u32_e32 v4, s2, v2
	v_add_nc_u32_e32 v6, s3, v2
	;; [unrolled: 1-line block ×4, first 2 shown]
	v_ashrrev_i32_e32 v5, 31, v4
	s_delay_alu instid0(VALU_DEP_4) | instskip(NEXT) | instid1(VALU_DEP_2)
	v_ashrrev_i32_e32 v7, 31, v6
	v_lshlrev_b64 v[4:5], 3, v[4:5]
	s_delay_alu instid0(VALU_DEP_2) | instskip(NEXT) | instid1(VALU_DEP_2)
	v_lshlrev_b64 v[6:7], 3, v[6:7]
	v_add_co_u32 v4, vcc_lo, s16, v4
	s_delay_alu instid0(VALU_DEP_3) | instskip(NEXT) | instid1(VALU_DEP_3)
	v_add_co_ci_u32_e32 v5, vcc_lo, s33, v5, vcc_lo
	v_add_co_u32 v6, vcc_lo, s16, v6
	s_delay_alu instid0(VALU_DEP_4)
	v_add_co_ci_u32_e32 v7, vcc_lo, s33, v7, vcc_lo
	v_cmp_le_i32_e32 vcc_lo, s4, v3
	s_clause 0x1
	global_load_b64 v[8:9], v[4:5], off
	global_load_b64 v[12:13], v[6:7], off
	s_waitcnt vmcnt(1)
	global_store_b64 v[6:7], v[8:9], off
	s_waitcnt vmcnt(0)
	global_store_b64 v[4:5], v[12:13], off
	s_or_b32 s6, vcc_lo, s6
	s_delay_alu instid0(SALU_CYCLE_1)
	s_and_not1_b32 exec_lo, exec_lo, s6
	s_cbranch_execnz .LBB5_262
	s_branch .LBB5_257
.LBB5_263:
	s_endpgm
	.section	.rodata,"a",@progbits
	.p2align	6, 0x0
	.amdhsa_kernel _ZN9rocsolver6v33100L18lasyf_kernel_upperI19rocblas_complex_numIfEPS3_EEviiPiT0_iilS5_lS5_PT_
		.amdhsa_group_segment_fixed_size 2068
		.amdhsa_private_segment_fixed_size 0
		.amdhsa_kernarg_size 72
		.amdhsa_user_sgpr_count 14
		.amdhsa_user_sgpr_dispatch_ptr 0
		.amdhsa_user_sgpr_queue_ptr 0
		.amdhsa_user_sgpr_kernarg_segment_ptr 1
		.amdhsa_user_sgpr_dispatch_id 0
		.amdhsa_user_sgpr_private_segment_size 0
		.amdhsa_wavefront_size32 1
		.amdhsa_uses_dynamic_stack 0
		.amdhsa_enable_private_segment 0
		.amdhsa_system_sgpr_workgroup_id_x 1
		.amdhsa_system_sgpr_workgroup_id_y 1
		.amdhsa_system_sgpr_workgroup_id_z 0
		.amdhsa_system_sgpr_workgroup_info 0
		.amdhsa_system_vgpr_workitem_id 0
		.amdhsa_next_free_vgpr 33
		.amdhsa_next_free_sgpr 78
		.amdhsa_reserve_vcc 1
		.amdhsa_float_round_mode_32 0
		.amdhsa_float_round_mode_16_64 0
		.amdhsa_float_denorm_mode_32 3
		.amdhsa_float_denorm_mode_16_64 3
		.amdhsa_dx10_clamp 1
		.amdhsa_ieee_mode 1
		.amdhsa_fp16_overflow 0
		.amdhsa_workgroup_processor_mode 1
		.amdhsa_memory_ordered 1
		.amdhsa_forward_progress 0
		.amdhsa_shared_vgpr_count 0
		.amdhsa_exception_fp_ieee_invalid_op 0
		.amdhsa_exception_fp_denorm_src 0
		.amdhsa_exception_fp_ieee_div_zero 0
		.amdhsa_exception_fp_ieee_overflow 0
		.amdhsa_exception_fp_ieee_underflow 0
		.amdhsa_exception_fp_ieee_inexact 0
		.amdhsa_exception_int_div_zero 0
	.end_amdhsa_kernel
	.section	.text._ZN9rocsolver6v33100L18lasyf_kernel_upperI19rocblas_complex_numIfEPS3_EEviiPiT0_iilS5_lS5_PT_,"axG",@progbits,_ZN9rocsolver6v33100L18lasyf_kernel_upperI19rocblas_complex_numIfEPS3_EEviiPiT0_iilS5_lS5_PT_,comdat
.Lfunc_end5:
	.size	_ZN9rocsolver6v33100L18lasyf_kernel_upperI19rocblas_complex_numIfEPS3_EEviiPiT0_iilS5_lS5_PT_, .Lfunc_end5-_ZN9rocsolver6v33100L18lasyf_kernel_upperI19rocblas_complex_numIfEPS3_EEviiPiT0_iilS5_lS5_PT_
                                        ; -- End function
	.section	.AMDGPU.csdata,"",@progbits
; Kernel info:
; codeLenInByte = 13196
; NumSgprs: 80
; NumVgprs: 33
; ScratchSize: 0
; MemoryBound: 0
; FloatMode: 240
; IeeeMode: 1
; LDSByteSize: 2068 bytes/workgroup (compile time only)
; SGPRBlocks: 9
; VGPRBlocks: 4
; NumSGPRsForWavesPerEU: 80
; NumVGPRsForWavesPerEU: 33
; Occupancy: 16
; WaveLimiterHint : 1
; COMPUTE_PGM_RSRC2:SCRATCH_EN: 0
; COMPUTE_PGM_RSRC2:USER_SGPR: 14
; COMPUTE_PGM_RSRC2:TRAP_HANDLER: 0
; COMPUTE_PGM_RSRC2:TGID_X_EN: 1
; COMPUTE_PGM_RSRC2:TGID_Y_EN: 1
; COMPUTE_PGM_RSRC2:TGID_Z_EN: 0
; COMPUTE_PGM_RSRC2:TIDIG_COMP_CNT: 0
	.section	.text._ZN9rocsolver6v33100L18lasyf_kernel_lowerI19rocblas_complex_numIfEPS3_EEviiPiT0_iilS5_lS5_PT_,"axG",@progbits,_ZN9rocsolver6v33100L18lasyf_kernel_lowerI19rocblas_complex_numIfEPS3_EEviiPiT0_iilS5_lS5_PT_,comdat
	.globl	_ZN9rocsolver6v33100L18lasyf_kernel_lowerI19rocblas_complex_numIfEPS3_EEviiPiT0_iilS5_lS5_PT_ ; -- Begin function _ZN9rocsolver6v33100L18lasyf_kernel_lowerI19rocblas_complex_numIfEPS3_EEviiPiT0_iilS5_lS5_PT_
	.p2align	8
	.type	_ZN9rocsolver6v33100L18lasyf_kernel_lowerI19rocblas_complex_numIfEPS3_EEviiPiT0_iilS5_lS5_PT_,@function
_ZN9rocsolver6v33100L18lasyf_kernel_lowerI19rocblas_complex_numIfEPS3_EEviiPiT0_iilS5_lS5_PT_: ; @_ZN9rocsolver6v33100L18lasyf_kernel_lowerI19rocblas_complex_numIfEPS3_EEviiPiT0_iilS5_lS5_PT_
; %bb.0:
	v_cmp_eq_u32_e64 s2, 0, v0
	s_mov_b32 s24, s15
	s_delay_alu instid0(VALU_DEP_1)
	s_and_saveexec_b32 s3, s2
	s_cbranch_execz .LBB6_2
; %bb.1:
	v_mov_b32_e32 v1, 0
	ds_store_b32 v1, v1 offset:2052
.LBB6_2:
	s_or_b32 exec_lo, exec_lo, s3
	s_clause 0x4
	s_load_b64 s[16:17], s[0:1], 0x18
	s_load_b256 s[4:11], s[0:1], 0x20
	s_load_b64 s[18:19], s[0:1], 0x0
	s_load_b128 s[12:15], s[0:1], 0x8
	s_load_b64 s[22:23], s[0:1], 0x40
	s_ashr_i32 s25, s24, 31
	v_lshlrev_b32_e32 v21, 3, v0
	s_waitcnt lgkmcnt(0)
	s_ashr_i32 s1, s16, 31
	s_mul_i32 s3, s24, s5
	s_mul_hi_u32 s5, s24, s4
	s_mov_b32 s0, s16
	s_mul_i32 s16, s25, s4
	s_add_i32 s3, s5, s3
	s_mul_i32 s4, s24, s4
	s_add_i32 s5, s3, s16
	s_mul_i32 s3, s24, s18
	s_lshl_b64 s[26:27], s[4:5], 3
	s_mul_i32 s4, s24, s9
	s_add_u32 s5, s14, s26
	s_addc_u32 s9, s15, s27
	s_lshl_b64 s[28:29], s[0:1], 3
	s_mul_i32 s0, s3, s19
	s_add_u32 s16, s5, s28
	s_addc_u32 s33, s9, s29
	s_ashr_i32 s1, s0, 31
	s_mul_hi_u32 s3, s24, s8
	s_lshl_b64 s[30:31], s[0:1], 3
	s_mul_i32 s1, s25, s8
	s_add_u32 s20, s22, s30
	s_addc_u32 s21, s23, s31
	s_add_i32 s3, s3, s4
	s_mul_i32 s0, s24, s8
	s_add_i32 s1, s3, s1
	v_mul_lo_u32 v22, v0, s17
	s_lshl_b64 s[0:1], s[0:1], 2
	s_delay_alu instid0(SALU_CYCLE_1)
	s_add_u32 s40, s6, s0
	s_addc_u32 s41, s7, s1
	s_cmp_lt_i32 s18, 1
	s_cbranch_scc1 .LBB6_264
; %bb.3:
	s_add_i32 s42, s19, -1
	s_cmp_eq_u32 s19, s18
	v_mul_lo_u32 v30, v0, s18
	s_cselect_b32 s43, -1, 0
	s_add_i32 s44, s18, -1
	s_add_i32 s45, s17, 1
	s_add_i32 s46, s18, -2
	s_add_i32 s47, s18, 1
	s_add_u32 s48, s16, -8
	s_addc_u32 s49, s33, -1
	s_add_u32 s50, s22, s30
	s_addc_u32 s51, s23, s31
	s_add_u32 s4, s26, s28
	s_addc_u32 s5, s27, s29
	v_add_co_u32 v2, s6, s50, v21
	s_add_u32 s52, s14, s4
	v_add_co_ci_u32_e64 v3, null, s51, 0, s6
	s_addc_u32 s53, s15, s5
	v_add_co_u32 v26, s4, s52, v21
	s_add_u32 s54, s50, 4
	v_dual_mov_b32 v4, 0 :: v_dual_lshlrev_b32 v23, 2, v0
	v_add_nc_u32_e32 v25, 2, v0
	s_addc_u32 s55, s51, 0
	v_add_co_ci_u32_e64 v27, null, s53, 0, s4
	s_ashr_i32 s5, s17, 31
	s_mov_b32 s4, s17
	v_add_co_u32 v28, vcc_lo, v2, 8
	s_lshl_b64 s[36:37], s[4:5], 3
	v_add_co_ci_u32_e32 v29, vcc_lo, 0, v3, vcc_lo
	v_mul_lo_u32 v33, v0, s17
	s_lshl_b32 s4, s18, 8
	v_add_co_u32 v31, vcc_lo, v2, 4
	s_mov_b32 s9, 0
	s_mov_b32 s8, s18
	s_ashr_i32 s5, s4, 31
	v_cmp_gt_u32_e64 s0, 0x80, v0
	v_or_b32_e32 v24, 0x400, v23
	v_cmp_gt_u32_e64 s1, 64, v0
	v_cmp_gt_u32_e64 s3, 32, v0
	v_mov_b32_e32 v1, 0
	v_add_co_ci_u32_e32 v32, vcc_lo, 0, v3, vcc_lo
	v_ashrrev_i32_e32 v34, 31, v30
	v_add_nc_u32_e32 v35, s17, v25
	s_lshl_b64 s[34:35], s[8:9], 3
	s_lshl_b32 s8, s17, 8
	s_lshl_b64 s[38:39], s[4:5], 3
	s_add_u32 s56, s52, 4
	s_addc_u32 s57, s53, 0
                                        ; implicit-def: $sgpr58
	s_branch .LBB6_6
.LBB6_4:                                ;   in Loop: Header=BB6_6 Depth=1
	s_or_b32 exec_lo, exec_lo, s4
	v_add_nc_u32_e32 v1, v8, v1
	s_and_not1_b32 s4, s58, exec_lo
	s_delay_alu instid0(VALU_DEP_1) | instskip(SKIP_1) | instid1(SALU_CYCLE_1)
	v_cmp_le_i32_e32 vcc_lo, s18, v1
	s_and_b32 s5, vcc_lo, exec_lo
	s_or_b32 s58, s4, s5
.LBB6_5:                                ;   in Loop: Header=BB6_6 Depth=1
	s_or_b32 exec_lo, exec_lo, s59
	s_delay_alu instid0(SALU_CYCLE_1) | instskip(NEXT) | instid1(SALU_CYCLE_1)
	s_and_b32 s4, exec_lo, s58
	s_or_b32 s9, s4, s9
	s_delay_alu instid0(SALU_CYCLE_1)
	s_and_not1_b32 exec_lo, exec_lo, s9
	s_cbranch_execz .LBB6_232
.LBB6_6:                                ; =>This Loop Header: Depth=1
                                        ;     Child Loop BB6_11 Depth 2
                                        ;     Child Loop BB6_16 Depth 2
                                        ;       Child Loop BB6_18 Depth 3
                                        ;     Child Loop BB6_22 Depth 2
                                        ;     Child Loop BB6_66 Depth 2
	;; [unrolled: 1-line block ×4, first 2 shown]
                                        ;       Child Loop BB6_78 Depth 3
                                        ;     Child Loop BB6_83 Depth 2
                                        ;     Child Loop BB6_126 Depth 2
	;; [unrolled: 1-line block ×9, first 2 shown]
	v_cmp_gt_i32_e32 vcc_lo, s42, v1
	s_or_b32 s58, s58, exec_lo
	s_or_b32 s4, s43, vcc_lo
	s_delay_alu instid0(SALU_CYCLE_1)
	s_and_saveexec_b32 s59, s4
	s_cbranch_execz .LBB6_5
; %bb.7:                                ;   in Loop: Header=BB6_6 Depth=1
	v_sub_nc_u32_e32 v38, s18, v1
	v_mul_lo_u32 v7, v1, s18
	s_mov_b32 s4, exec_lo
	s_delay_alu instid0(VALU_DEP_2)
	v_cmp_gt_i32_e64 s5, v38, v0
	v_cmpx_le_i32_e64 v38, v0
	s_xor_b32 s4, exec_lo, s4
; %bb.8:                                ;   in Loop: Header=BB6_6 Depth=1
	v_mul_lo_u32 v7, v1, s18
; %bb.9:                                ;   in Loop: Header=BB6_6 Depth=1
	s_and_not1_saveexec_b32 s6, s4
	s_cbranch_execz .LBB6_13
; %bb.10:                               ;   in Loop: Header=BB6_6 Depth=1
	v_mad_u64_u32 v[2:3], null, s45, v1, v[0:1]
	v_mad_u64_u32 v[5:6], null, s47, v1, v[0:1]
	v_mov_b32_e32 v6, v4
	s_mov_b32 s7, 0
	s_delay_alu instid0(VALU_DEP_3) | instskip(NEXT) | instid1(VALU_DEP_2)
	v_ashrrev_i32_e32 v3, 31, v2
	v_lshlrev_b64 v[5:6], 3, v[5:6]
	s_delay_alu instid0(VALU_DEP_2) | instskip(NEXT) | instid1(VALU_DEP_2)
	v_lshlrev_b64 v[8:9], 3, v[2:3]
	v_add_co_u32 v2, vcc_lo, s50, v5
	s_delay_alu instid0(VALU_DEP_3) | instskip(NEXT) | instid1(VALU_DEP_3)
	v_add_co_ci_u32_e32 v3, vcc_lo, s51, v6, vcc_lo
	v_add_co_u32 v5, vcc_lo, s52, v8
	s_delay_alu instid0(VALU_DEP_4)
	v_add_co_ci_u32_e32 v6, vcc_lo, s53, v9, vcc_lo
	v_mov_b32_e32 v8, v0
	.p2align	6
.LBB6_11:                               ;   Parent Loop BB6_6 Depth=1
                                        ; =>  This Inner Loop Header: Depth=2
	global_load_b64 v[9:10], v[5:6], off
	v_add_nc_u32_e32 v8, 0x100, v8
	v_add_co_u32 v5, vcc_lo, 0x800, v5
	v_add_co_ci_u32_e32 v6, vcc_lo, 0, v6, vcc_lo
	s_delay_alu instid0(VALU_DEP_3) | instskip(SKIP_4) | instid1(VALU_DEP_1)
	v_cmp_ge_i32_e32 vcc_lo, v8, v38
	s_or_b32 s7, vcc_lo, s7
	s_waitcnt vmcnt(0)
	global_store_b64 v[2:3], v[9:10], off
	v_add_co_u32 v2, s4, 0x800, v2
	v_add_co_ci_u32_e64 v3, s4, 0, v3, s4
	s_and_not1_b32 exec_lo, exec_lo, s7
	s_cbranch_execnz .LBB6_11
; %bb.12:                               ;   in Loop: Header=BB6_6 Depth=1
	s_or_b32 exec_lo, exec_lo, s7
.LBB6_13:                               ;   in Loop: Header=BB6_6 Depth=1
	s_delay_alu instid0(SALU_CYCLE_1) | instskip(SKIP_1) | instid1(VALU_DEP_2)
	s_or_b32 exec_lo, exec_lo, s6
	v_mov_b32_e32 v2, v4
	v_ashrrev_i32_e32 v8, 31, v7
	s_waitcnt_vscnt null, 0x0
	s_waitcnt lgkmcnt(0)
	s_barrier
	buffer_gl0_inv
	v_lshlrev_b64 v[9:10], 3, v[1:2]
	v_lshlrev_b64 v[11:12], 3, v[7:8]
	s_delay_alu instid0(VALU_DEP_2) | instskip(NEXT) | instid1(VALU_DEP_3)
	v_add_co_u32 v8, vcc_lo, s20, v9
	v_add_co_ci_u32_e32 v39, vcc_lo, s21, v10, vcc_lo
	s_delay_alu instid0(VALU_DEP_2) | instskip(NEXT) | instid1(VALU_DEP_2)
	v_add_co_u32 v5, vcc_lo, v8, v11
	v_add_co_ci_u32_e32 v6, vcc_lo, v39, v12, vcc_lo
	s_and_saveexec_b32 s7, s5
	s_cbranch_execz .LBB6_20
; %bb.14:                               ;   in Loop: Header=BB6_6 Depth=1
	v_add_co_u32 v13, s4, s54, v9
	s_delay_alu instid0(VALU_DEP_1)
	v_add_co_ci_u32_e64 v14, s4, s55, v10, s4
	v_add_co_u32 v15, s4, v26, v9
	v_cmp_ne_u32_e32 vcc_lo, 0, v1
	v_add_co_ci_u32_e64 v16, s4, v27, v10, s4
	v_mov_b32_e32 v3, v0
	s_mov_b32 s60, 0
	s_branch .LBB6_16
.LBB6_15:                               ;   in Loop: Header=BB6_16 Depth=2
	s_or_b32 exec_lo, exec_lo, s61
	v_lshlrev_b64 v[17:18], 3, v[3:4]
	v_fma_f32 v40, 0x80000000, v36, -v37
	v_fma_f32 v36, v37, 0, -v36
	v_add_co_u32 v15, s6, 0x800, v15
	s_delay_alu instid0(VALU_DEP_1) | instskip(SKIP_1) | instid1(VALU_DEP_1)
	v_add_co_ci_u32_e64 v16, s6, 0, v16, s6
	v_add_co_u32 v17, s4, v5, v17
	v_add_co_ci_u32_e64 v18, s4, v6, v18, s4
	global_load_b64 v[19:20], v[17:18], off
	s_waitcnt vmcnt(0)
	v_dual_fmamk_f32 v37, v20, 0x80000000, v19 :: v_dual_fmac_f32 v20, 0, v19
	v_add_nc_u32_e32 v3, 0x100, v3
	s_delay_alu instid0(VALU_DEP_2) | instskip(NEXT) | instid1(VALU_DEP_3)
	v_add_f32_e32 v19, v40, v37
	v_add_f32_e32 v20, v36, v20
	s_delay_alu instid0(VALU_DEP_3) | instskip(SKIP_2) | instid1(SALU_CYCLE_1)
	v_cmp_ge_i32_e64 s4, v3, v38
	global_store_b64 v[17:18], v[19:20], off
	s_or_b32 s60, s4, s60
	s_and_not1_b32 exec_lo, exec_lo, s60
	s_cbranch_execz .LBB6_20
.LBB6_16:                               ;   Parent Loop BB6_6 Depth=1
                                        ; =>  This Loop Header: Depth=2
                                        ;       Child Loop BB6_18 Depth 3
	v_dual_mov_b32 v36, 0 :: v_dual_mov_b32 v37, 0
	s_and_saveexec_b32 s61, vcc_lo
	s_cbranch_execz .LBB6_15
; %bb.17:                               ;   in Loop: Header=BB6_16 Depth=2
	v_mov_b32_e32 v18, v16
	v_dual_mov_b32 v20, v14 :: v_dual_mov_b32 v37, 0
	v_dual_mov_b32 v36, 0 :: v_dual_mov_b32 v17, v15
	v_mov_b32_e32 v19, v13
	v_mov_b32_e32 v40, v1
	s_mov_b32 s62, 0
	.p2align	6
.LBB6_18:                               ;   Parent Loop BB6_6 Depth=1
                                        ;     Parent Loop BB6_16 Depth=2
                                        ; =>    This Inner Loop Header: Depth=3
	global_load_b64 v[41:42], v[17:18], off
	global_load_b64 v[43:44], v[19:20], off offset:-4
	v_add_nc_u32_e32 v40, -1, v40
	v_add_co_u32 v19, s4, v19, s34
	s_delay_alu instid0(VALU_DEP_1) | instskip(SKIP_1) | instid1(VALU_DEP_1)
	v_add_co_ci_u32_e64 v20, s4, s35, v20, s4
	v_add_co_u32 v17, s4, v17, s36
	v_add_co_ci_u32_e64 v18, s4, s37, v18, s4
	s_waitcnt vmcnt(0)
	v_mul_f32_e32 v45, v44, v42
	v_mul_f32_e32 v42, v43, v42
	v_cmp_eq_u32_e64 s6, 0, v40
	s_delay_alu instid0(VALU_DEP_3) | instskip(NEXT) | instid1(VALU_DEP_2)
	v_fma_f32 v43, v43, v41, -v45
	s_or_b32 s62, s6, s62
	s_delay_alu instid0(VALU_DEP_1) | instskip(NEXT) | instid1(VALU_DEP_1)
	v_dual_add_f32 v37, v37, v43 :: v_dual_fmac_f32 v42, v44, v41
	v_add_f32_e32 v36, v36, v42
	s_and_not1_b32 exec_lo, exec_lo, s62
	s_cbranch_execnz .LBB6_18
; %bb.19:                               ;   in Loop: Header=BB6_16 Depth=2
	s_or_b32 exec_lo, exec_lo, s62
	s_branch .LBB6_15
.LBB6_20:                               ;   in Loop: Header=BB6_6 Depth=1
	s_or_b32 exec_lo, exec_lo, s7
	v_add_nc_u32_e32 v37, -1, v38
	v_mov_b32_e32 v3, 0
	v_bfrev_b32_e32 v13, -2
	s_waitcnt_vscnt null, 0x0
	s_barrier
	v_cmp_gt_i32_e64 s4, v37, v0
	buffer_gl0_inv
	s_and_saveexec_b32 s60, s4
	s_cbranch_execz .LBB6_24
; %bb.21:                               ;   in Loop: Header=BB6_6 Depth=1
	v_add_co_u32 v3, vcc_lo, v11, v9
	v_add_co_ci_u32_e32 v12, vcc_lo, v12, v10, vcc_lo
	v_bfrev_b32_e32 v13, -2
	s_delay_alu instid0(VALU_DEP_3) | instskip(NEXT) | instid1(VALU_DEP_3)
	v_add_co_u32 v11, vcc_lo, v28, v3
	v_add_co_ci_u32_e32 v12, vcc_lo, v29, v12, vcc_lo
	v_dual_mov_b32 v3, 0 :: v_dual_mov_b32 v14, v0
	s_mov_b32 s61, 0
	.p2align	6
.LBB6_22:                               ;   Parent Loop BB6_6 Depth=1
                                        ; =>  This Inner Loop Header: Depth=2
	global_load_b64 v[15:16], v[11:12], off
	v_add_co_u32 v11, s7, 0x800, v11
	s_delay_alu instid0(VALU_DEP_1)
	v_add_co_ci_u32_e64 v12, s7, 0, v12, s7
	s_waitcnt vmcnt(0)
	v_cmp_gt_f32_e32 vcc_lo, 0, v15
	v_cndmask_b32_e64 v15, v15, -v15, vcc_lo
	v_cmp_gt_f32_e32 vcc_lo, 0, v16
	v_cndmask_b32_e64 v16, v16, -v16, vcc_lo
	v_cmp_eq_u32_e32 vcc_lo, 0x7fffffff, v13
	s_delay_alu instid0(VALU_DEP_2) | instskip(NEXT) | instid1(VALU_DEP_1)
	v_dual_add_f32 v15, v15, v16 :: v_dual_add_nc_u32 v16, 1, v14
	v_cmp_lt_f32_e64 s6, v3, v15
	s_delay_alu instid0(VALU_DEP_1) | instskip(NEXT) | instid1(VALU_DEP_2)
	s_or_b32 vcc_lo, s6, vcc_lo
	v_dual_cndmask_b32 v13, v13, v16 :: v_dual_add_nc_u32 v14, 0x100, v14
	v_cndmask_b32_e32 v3, v3, v15, vcc_lo
	s_delay_alu instid0(VALU_DEP_2) | instskip(NEXT) | instid1(VALU_DEP_1)
	v_cmp_ge_i32_e64 s7, v14, v37
	s_or_b32 s61, s7, s61
	s_delay_alu instid0(SALU_CYCLE_1)
	s_and_not1_b32 exec_lo, exec_lo, s61
	s_cbranch_execnz .LBB6_22
; %bb.23:                               ;   in Loop: Header=BB6_6 Depth=1
	s_or_b32 exec_lo, exec_lo, s61
.LBB6_24:                               ;   in Loop: Header=BB6_6 Depth=1
	s_delay_alu instid0(SALU_CYCLE_1) | instskip(NEXT) | instid1(SALU_CYCLE_1)
	s_or_b32 exec_lo, exec_lo, s60
	s_mov_b32 s60, exec_lo
	ds_store_b32 v24, v3
	ds_store_b32 v23, v13
	s_waitcnt lgkmcnt(0)
	s_barrier
	buffer_gl0_inv
	v_cmpx_lt_i32_e32 2, v38
	s_cbranch_execz .LBB6_60
; %bb.25:                               ;   in Loop: Header=BB6_6 Depth=1
	s_and_saveexec_b32 s7, s0
	s_cbranch_execz .LBB6_31
; %bb.26:                               ;   in Loop: Header=BB6_6 Depth=1
	ds_load_b32 v11, v24 offset:512
	ds_load_b32 v12, v23 offset:512
	s_mov_b32 s62, exec_lo
	s_waitcnt lgkmcnt(1)
	v_cmp_lt_f32_e64 s61, v3, v11
	v_cmpx_nlt_f32_e32 v3, v11
	s_cbranch_execz .LBB6_28
; %bb.27:                               ;   in Loop: Header=BB6_6 Depth=1
	v_cmp_eq_f32_e32 vcc_lo, v3, v11
	s_waitcnt lgkmcnt(0)
	v_cmp_gt_i32_e64 s6, v13, v12
	s_and_not1_b32 s61, s61, exec_lo
	s_delay_alu instid0(VALU_DEP_1) | instskip(NEXT) | instid1(SALU_CYCLE_1)
	s_and_b32 s6, vcc_lo, s6
	s_and_b32 s6, s6, exec_lo
	s_delay_alu instid0(SALU_CYCLE_1)
	s_or_b32 s61, s61, s6
.LBB6_28:                               ;   in Loop: Header=BB6_6 Depth=1
	s_or_b32 exec_lo, exec_lo, s62
	s_delay_alu instid0(VALU_DEP_2)
	s_and_saveexec_b32 s6, s61
	s_cbranch_execz .LBB6_30
; %bb.29:                               ;   in Loop: Header=BB6_6 Depth=1
	v_mov_b32_e32 v3, v11
	s_waitcnt lgkmcnt(0)
	v_mov_b32_e32 v13, v12
	ds_store_b32 v24, v11
	ds_store_b32 v23, v12
.LBB6_30:                               ;   in Loop: Header=BB6_6 Depth=1
	s_or_b32 exec_lo, exec_lo, s6
.LBB6_31:                               ;   in Loop: Header=BB6_6 Depth=1
	s_delay_alu instid0(SALU_CYCLE_1)
	s_or_b32 exec_lo, exec_lo, s7
	s_waitcnt lgkmcnt(0)
	s_barrier
	buffer_gl0_inv
	s_and_saveexec_b32 s7, s1
	s_cbranch_execz .LBB6_37
; %bb.32:                               ;   in Loop: Header=BB6_6 Depth=1
	ds_load_b32 v11, v24 offset:256
	ds_load_b32 v12, v23 offset:256
	s_mov_b32 s62, exec_lo
	s_waitcnt lgkmcnt(1)
	v_cmp_lt_f32_e64 s61, v3, v11
	v_cmpx_nlt_f32_e32 v3, v11
	s_cbranch_execz .LBB6_34
; %bb.33:                               ;   in Loop: Header=BB6_6 Depth=1
	v_cmp_eq_f32_e32 vcc_lo, v3, v11
	s_waitcnt lgkmcnt(0)
	v_cmp_gt_i32_e64 s6, v13, v12
	s_and_not1_b32 s61, s61, exec_lo
	s_delay_alu instid0(VALU_DEP_1) | instskip(NEXT) | instid1(SALU_CYCLE_1)
	s_and_b32 s6, vcc_lo, s6
	s_and_b32 s6, s6, exec_lo
	s_delay_alu instid0(SALU_CYCLE_1)
	s_or_b32 s61, s61, s6
.LBB6_34:                               ;   in Loop: Header=BB6_6 Depth=1
	s_or_b32 exec_lo, exec_lo, s62
	s_delay_alu instid0(VALU_DEP_2)
	s_and_saveexec_b32 s6, s61
	s_cbranch_execz .LBB6_36
; %bb.35:                               ;   in Loop: Header=BB6_6 Depth=1
	v_mov_b32_e32 v3, v11
	s_waitcnt lgkmcnt(0)
	v_mov_b32_e32 v13, v12
	ds_store_b32 v24, v11
	ds_store_b32 v23, v12
.LBB6_36:                               ;   in Loop: Header=BB6_6 Depth=1
	s_or_b32 exec_lo, exec_lo, s6
.LBB6_37:                               ;   in Loop: Header=BB6_6 Depth=1
	s_delay_alu instid0(SALU_CYCLE_1)
	s_or_b32 exec_lo, exec_lo, s7
	s_waitcnt lgkmcnt(0)
	s_barrier
	buffer_gl0_inv
	s_and_b32 exec_lo, exec_lo, s3
	s_cbranch_execz .LBB6_60
; %bb.38:                               ;   in Loop: Header=BB6_6 Depth=1
	ds_load_b32 v11, v24 offset:128
	ds_load_b32 v12, v23 offset:128
	s_mov_b32 s61, exec_lo
	s_waitcnt lgkmcnt(1)
	v_cmp_lt_f32_e64 s7, v3, v11
	v_cmpx_nlt_f32_e32 v3, v11
	s_cbranch_execz .LBB6_40
; %bb.39:                               ;   in Loop: Header=BB6_6 Depth=1
	v_cmp_eq_f32_e32 vcc_lo, v3, v11
	s_waitcnt lgkmcnt(0)
	v_cmp_gt_i32_e64 s6, v13, v12
	s_and_not1_b32 s7, s7, exec_lo
	s_delay_alu instid0(VALU_DEP_1) | instskip(NEXT) | instid1(SALU_CYCLE_1)
	s_and_b32 s6, vcc_lo, s6
	s_and_b32 s6, s6, exec_lo
	s_delay_alu instid0(SALU_CYCLE_1)
	s_or_b32 s7, s7, s6
.LBB6_40:                               ;   in Loop: Header=BB6_6 Depth=1
	s_or_b32 exec_lo, exec_lo, s61
	s_delay_alu instid0(VALU_DEP_2)
	s_and_saveexec_b32 s6, s7
	s_cbranch_execz .LBB6_42
; %bb.41:                               ;   in Loop: Header=BB6_6 Depth=1
	s_waitcnt lgkmcnt(0)
	v_mov_b32_e32 v13, v12
	v_mov_b32_e32 v3, v11
	ds_store_b32 v24, v11
	ds_store_b32 v23, v12
.LBB6_42:                               ;   in Loop: Header=BB6_6 Depth=1
	s_or_b32 exec_lo, exec_lo, s6
	ds_load_b32 v11, v24 offset:64
	s_waitcnt lgkmcnt(1)
	ds_load_b32 v12, v23 offset:64
	s_mov_b32 s61, exec_lo
	s_waitcnt lgkmcnt(1)
	v_cmp_lt_f32_e64 s7, v3, v11
	v_cmpx_nlt_f32_e32 v3, v11
	s_cbranch_execz .LBB6_44
; %bb.43:                               ;   in Loop: Header=BB6_6 Depth=1
	v_cmp_eq_f32_e32 vcc_lo, v3, v11
	s_waitcnt lgkmcnt(0)
	v_cmp_gt_i32_e64 s6, v13, v12
	s_and_not1_b32 s7, s7, exec_lo
	s_delay_alu instid0(VALU_DEP_1) | instskip(NEXT) | instid1(SALU_CYCLE_1)
	s_and_b32 s6, vcc_lo, s6
	s_and_b32 s6, s6, exec_lo
	s_delay_alu instid0(SALU_CYCLE_1)
	s_or_b32 s7, s7, s6
.LBB6_44:                               ;   in Loop: Header=BB6_6 Depth=1
	s_or_b32 exec_lo, exec_lo, s61
	s_delay_alu instid0(VALU_DEP_2)
	s_and_saveexec_b32 s6, s7
	s_cbranch_execz .LBB6_46
; %bb.45:                               ;   in Loop: Header=BB6_6 Depth=1
	s_waitcnt lgkmcnt(0)
	v_mov_b32_e32 v13, v12
	v_mov_b32_e32 v3, v11
	ds_store_b32 v24, v11
	ds_store_b32 v23, v12
.LBB6_46:                               ;   in Loop: Header=BB6_6 Depth=1
	s_or_b32 exec_lo, exec_lo, s6
	ds_load_b32 v11, v24 offset:32
	s_waitcnt lgkmcnt(1)
	;; [unrolled: 31-line block ×5, first 2 shown]
	ds_load_b32 v12, v23 offset:4
	s_waitcnt lgkmcnt(1)
	v_cmp_eq_f32_e32 vcc_lo, v3, v11
	s_waitcnt lgkmcnt(0)
	v_cmp_gt_i32_e64 s6, v13, v12
	v_cmp_lt_f32_e64 s7, v3, v11
	s_delay_alu instid0(VALU_DEP_2)
	s_and_b32 s6, vcc_lo, s6
	s_delay_alu instid0(VALU_DEP_1) | instid1(SALU_CYCLE_1)
	s_or_b32 s6, s7, s6
	s_delay_alu instid0(SALU_CYCLE_1)
	s_and_b32 exec_lo, exec_lo, s6
	s_cbranch_execz .LBB6_60
; %bb.59:                               ;   in Loop: Header=BB6_6 Depth=1
	ds_store_b32 v24, v11
	ds_store_b32 v23, v12
.LBB6_60:                               ;   in Loop: Header=BB6_6 Depth=1
	s_or_b32 exec_lo, exec_lo, s60
	s_and_saveexec_b32 s6, s2
	s_cbranch_execz .LBB6_62
; %bb.61:                               ;   in Loop: Header=BB6_6 Depth=1
	global_load_b64 v[11:12], v[5:6], off
	ds_load_2addr_stride64_b32 v[13:14], v4 offset1:4
	s_waitcnt vmcnt(0)
	v_cmp_gt_f32_e32 vcc_lo, 0, v11
	v_cndmask_b32_e64 v3, v11, -v11, vcc_lo
	v_cmp_gt_f32_e32 vcc_lo, 0, v12
	v_cndmask_b32_e64 v11, v12, -v12, vcc_lo
	s_waitcnt lgkmcnt(0)
	s_delay_alu instid0(VALU_DEP_1)
	v_dual_add_f32 v13, v3, v11 :: v_dual_add_nc_u32 v12, v13, v1
	ds_store_b32 v4, v12 offset:2048
	ds_store_b64 v4, v[13:14] offset:2056
.LBB6_62:                               ;   in Loop: Header=BB6_6 Depth=1
	s_or_b32 exec_lo, exec_lo, s6
	s_waitcnt lgkmcnt(0)
	s_barrier
	buffer_gl0_inv
	ds_load_b64 v[11:12], v4 offset:2056
	v_add_nc_u32_e32 v36, 1, v1
	s_waitcnt lgkmcnt(0)
	v_cmp_lt_f32_e32 vcc_lo, v11, v12
	v_cndmask_b32_e32 v3, v11, v12, vcc_lo
	s_delay_alu instid0(VALU_DEP_1)
	v_cmp_neq_f32_e32 vcc_lo, 0, v3
	s_cbranch_vccz .LBB6_80
; %bb.63:                               ;   in Loop: Header=BB6_6 Depth=1
	v_mul_f32_e32 v3, 0x3f23f07b, v12
	s_delay_alu instid0(VALU_DEP_1)
	v_cmp_ge_f32_e32 vcc_lo, v11, v3
	s_cbranch_vccnz .LBB6_175
; %bb.64:                               ;   in Loop: Header=BB6_6 Depth=1
	ds_load_b32 v3, v4 offset:2048
	s_mov_b32 s7, exec_lo
	s_waitcnt lgkmcnt(0)
	v_sub_nc_u32_e32 v15, v3, v1
	s_delay_alu instid0(VALU_DEP_1)
	v_cmpx_gt_i32_e64 v15, v0
	s_cbranch_execz .LBB6_67
; %bb.65:                               ;   in Loop: Header=BB6_6 Depth=1
	v_add_nc_u32_e32 v13, v0, v1
	s_mov_b32 s60, 0
	s_delay_alu instid0(VALU_DEP_1) | instskip(NEXT) | instid1(VALU_DEP_1)
	v_mad_u64_u32 v[11:12], null, v36, s18, v[13:14]
	v_ashrrev_i32_e32 v12, 31, v11
	s_delay_alu instid0(VALU_DEP_1) | instskip(SKIP_1) | instid1(VALU_DEP_2)
	v_lshlrev_b64 v[16:17], 3, v[11:12]
	v_mad_u64_u32 v[11:12], null, s17, v13, v[3:4]
	v_add_co_u32 v13, vcc_lo, s50, v16
	s_delay_alu instid0(VALU_DEP_3)
	v_add_co_ci_u32_e32 v14, vcc_lo, s51, v17, vcc_lo
	v_mov_b32_e32 v16, v0
	.p2align	6
.LBB6_66:                               ;   Parent Loop BB6_6 Depth=1
                                        ; =>  This Inner Loop Header: Depth=2
	s_delay_alu instid0(VALU_DEP_4) | instskip(NEXT) | instid1(VALU_DEP_2)
	v_ashrrev_i32_e32 v12, 31, v11
	v_add_nc_u32_e32 v16, 0x100, v16
	s_delay_alu instid0(VALU_DEP_2) | instskip(SKIP_1) | instid1(VALU_DEP_2)
	v_lshlrev_b64 v[17:18], 3, v[11:12]
	v_add_nc_u32_e32 v11, s8, v11
	v_add_co_u32 v17, vcc_lo, s16, v17
	s_delay_alu instid0(VALU_DEP_3)
	v_add_co_ci_u32_e32 v18, vcc_lo, s33, v18, vcc_lo
	v_cmp_ge_i32_e32 vcc_lo, v16, v15
	global_load_b64 v[17:18], v[17:18], off
	s_or_b32 s60, vcc_lo, s60
	s_waitcnt vmcnt(0)
	global_store_b64 v[13:14], v[17:18], off
	v_add_co_u32 v13, s6, 0x800, v13
	s_delay_alu instid0(VALU_DEP_1)
	v_add_co_ci_u32_e64 v14, s6, 0, v14, s6
	s_and_not1_b32 exec_lo, exec_lo, s60
	s_cbranch_execnz .LBB6_66
.LBB6_67:                               ;   in Loop: Header=BB6_6 Depth=1
	s_or_b32 exec_lo, exec_lo, s7
	v_sub_nc_u32_e32 v16, s18, v3
	s_mov_b32 s6, exec_lo
                                        ; implicit-def: $vgpr11
	s_delay_alu instid0(VALU_DEP_1)
	v_cmpx_le_i32_e64 v16, v0
	s_xor_b32 s6, exec_lo, s6
; %bb.68:                               ;   in Loop: Header=BB6_6 Depth=1
	v_mul_lo_u32 v11, v36, s18
                                        ; implicit-def: $vgpr16
                                        ; implicit-def: $vgpr3
; %bb.69:                               ;   in Loop: Header=BB6_6 Depth=1
	s_and_not1_saveexec_b32 s7, s6
	s_cbranch_execz .LBB6_73
; %bb.70:                               ;   in Loop: Header=BB6_6 Depth=1
	v_mul_lo_u32 v11, v36, s18
	v_mad_u64_u32 v[12:13], null, s45, v3, v[0:1]
	s_mov_b32 s60, 0
	s_delay_alu instid0(VALU_DEP_2) | instskip(NEXT) | instid1(VALU_DEP_2)
	v_add3_u32 v14, v0, v3, v11
	v_ashrrev_i32_e32 v13, 31, v12
	v_mov_b32_e32 v3, v0
	s_delay_alu instid0(VALU_DEP_3) | instskip(NEXT) | instid1(VALU_DEP_3)
	v_ashrrev_i32_e32 v15, 31, v14
	v_lshlrev_b64 v[12:13], 3, v[12:13]
	s_delay_alu instid0(VALU_DEP_2) | instskip(NEXT) | instid1(VALU_DEP_2)
	v_lshlrev_b64 v[14:15], 3, v[14:15]
	v_add_co_u32 v12, vcc_lo, s52, v12
	s_delay_alu instid0(VALU_DEP_3) | instskip(NEXT) | instid1(VALU_DEP_3)
	v_add_co_ci_u32_e32 v13, vcc_lo, s53, v13, vcc_lo
	v_add_co_u32 v14, vcc_lo, s50, v14
	s_delay_alu instid0(VALU_DEP_4)
	v_add_co_ci_u32_e32 v15, vcc_lo, s51, v15, vcc_lo
	.p2align	6
.LBB6_71:                               ;   Parent Loop BB6_6 Depth=1
                                        ; =>  This Inner Loop Header: Depth=2
	global_load_b64 v[17:18], v[12:13], off
	v_add_nc_u32_e32 v3, 0x100, v3
	v_add_co_u32 v12, vcc_lo, 0x800, v12
	v_add_co_ci_u32_e32 v13, vcc_lo, 0, v13, vcc_lo
	s_delay_alu instid0(VALU_DEP_3) | instskip(SKIP_4) | instid1(VALU_DEP_1)
	v_cmp_ge_i32_e32 vcc_lo, v3, v16
	s_or_b32 s60, vcc_lo, s60
	s_waitcnt vmcnt(0)
	global_store_b64 v[14:15], v[17:18], off
	v_add_co_u32 v14, s6, 0x800, v14
	v_add_co_ci_u32_e64 v15, s6, 0, v15, s6
	s_and_not1_b32 exec_lo, exec_lo, s60
	s_cbranch_execnz .LBB6_71
; %bb.72:                               ;   in Loop: Header=BB6_6 Depth=1
	s_or_b32 exec_lo, exec_lo, s60
.LBB6_73:                               ;   in Loop: Header=BB6_6 Depth=1
	s_delay_alu instid0(SALU_CYCLE_1) | instskip(NEXT) | instid1(VALU_DEP_1)
	s_or_b32 exec_lo, exec_lo, s7
	v_ashrrev_i32_e32 v12, 31, v11
	s_waitcnt_vscnt null, 0x0
	s_barrier
	buffer_gl0_inv
	s_and_saveexec_b32 s60, s5
	s_cbranch_execz .LBB6_81
; %bb.74:                               ;   in Loop: Header=BB6_6 Depth=1
	ds_load_b32 v15, v4 offset:2048
	v_lshlrev_b64 v[17:18], 3, v[11:12]
	v_add_co_u32 v13, s6, v26, v9
	s_delay_alu instid0(VALU_DEP_1) | instskip(SKIP_1) | instid1(VALU_DEP_4)
	v_add_co_ci_u32_e64 v14, s6, v27, v10, s6
	v_cmp_ne_u32_e32 vcc_lo, 0, v1
	v_add_co_u32 v8, s6, v8, v17
	s_delay_alu instid0(VALU_DEP_1) | instskip(SKIP_4) | instid1(VALU_DEP_1)
	v_add_co_ci_u32_e64 v39, s6, v39, v18, s6
	v_mov_b32_e32 v3, v0
	s_mov_b32 s61, 0
	s_waitcnt lgkmcnt(0)
	v_ashrrev_i32_e32 v16, 31, v15
	v_lshlrev_b64 v[15:16], 3, v[15:16]
	s_delay_alu instid0(VALU_DEP_1) | instskip(NEXT) | instid1(VALU_DEP_1)
	v_add_co_u32 v15, s6, s54, v15
	v_add_co_ci_u32_e64 v16, s6, s55, v16, s6
	s_branch .LBB6_76
.LBB6_75:                               ;   in Loop: Header=BB6_76 Depth=2
	s_or_b32 exec_lo, exec_lo, s62
	v_lshlrev_b64 v[17:18], 3, v[3:4]
	v_fma_f32 v42, 0x80000000, v40, -v41
	v_fma_f32 v40, v41, 0, -v40
	v_add_co_u32 v13, s7, 0x800, v13
	s_delay_alu instid0(VALU_DEP_1) | instskip(SKIP_1) | instid1(VALU_DEP_1)
	v_add_co_ci_u32_e64 v14, s7, 0, v14, s7
	v_add_co_u32 v17, s6, v8, v17
	v_add_co_ci_u32_e64 v18, s6, v39, v18, s6
	global_load_b64 v[19:20], v[17:18], off
	s_waitcnt vmcnt(0)
	v_dual_fmamk_f32 v41, v20, 0x80000000, v19 :: v_dual_fmac_f32 v20, 0, v19
	v_add_nc_u32_e32 v3, 0x100, v3
	s_delay_alu instid0(VALU_DEP_2) | instskip(NEXT) | instid1(VALU_DEP_2)
	v_dual_add_f32 v19, v42, v41 :: v_dual_add_f32 v20, v40, v20
	v_cmp_ge_i32_e64 s6, v3, v38
	global_store_b64 v[17:18], v[19:20], off
	s_or_b32 s61, s6, s61
	s_delay_alu instid0(SALU_CYCLE_1)
	s_and_not1_b32 exec_lo, exec_lo, s61
	s_cbranch_execz .LBB6_81
.LBB6_76:                               ;   Parent Loop BB6_6 Depth=1
                                        ; =>  This Loop Header: Depth=2
                                        ;       Child Loop BB6_78 Depth 3
	v_dual_mov_b32 v40, 0 :: v_dual_mov_b32 v41, 0
	s_and_saveexec_b32 s62, vcc_lo
	s_cbranch_execz .LBB6_75
; %bb.77:                               ;   in Loop: Header=BB6_76 Depth=2
	v_mov_b32_e32 v18, v14
	v_dual_mov_b32 v20, v16 :: v_dual_mov_b32 v41, 0
	v_dual_mov_b32 v40, 0 :: v_dual_mov_b32 v17, v13
	;; [unrolled: 1-line block ×3, first 2 shown]
	s_mov_b32 s63, 0
	.p2align	6
.LBB6_78:                               ;   Parent Loop BB6_6 Depth=1
                                        ;     Parent Loop BB6_76 Depth=2
                                        ; =>    This Inner Loop Header: Depth=3
	global_load_b64 v[43:44], v[17:18], off
	global_load_b64 v[45:46], v[19:20], off offset:-4
	v_add_nc_u32_e32 v42, -1, v42
	v_add_co_u32 v19, s6, v19, s34
	s_delay_alu instid0(VALU_DEP_1) | instskip(SKIP_1) | instid1(VALU_DEP_1)
	v_add_co_ci_u32_e64 v20, s6, s35, v20, s6
	v_add_co_u32 v17, s6, v17, s36
	v_add_co_ci_u32_e64 v18, s6, s37, v18, s6
	s_waitcnt vmcnt(0)
	v_mul_f32_e32 v47, v46, v44
	v_mul_f32_e32 v44, v45, v44
	v_cmp_eq_u32_e64 s7, 0, v42
	s_delay_alu instid0(VALU_DEP_3) | instskip(NEXT) | instid1(VALU_DEP_3)
	v_fma_f32 v45, v45, v43, -v47
	v_fmac_f32_e32 v44, v46, v43
	s_delay_alu instid0(VALU_DEP_3) | instskip(NEXT) | instid1(VALU_DEP_1)
	s_or_b32 s63, s7, s63
	v_dual_add_f32 v41, v41, v45 :: v_dual_add_f32 v40, v40, v44
	s_and_not1_b32 exec_lo, exec_lo, s63
	s_cbranch_execnz .LBB6_78
; %bb.79:                               ;   in Loop: Header=BB6_76 Depth=2
	s_or_b32 exec_lo, exec_lo, s63
	s_branch .LBB6_75
.LBB6_80:                               ;   in Loop: Header=BB6_6 Depth=1
                                        ; implicit-def: $sgpr5
                                        ; implicit-def: $vgpr3
                                        ; implicit-def: $vgpr8
	s_cbranch_execnz .LBB6_224
	s_branch .LBB6_227
.LBB6_81:                               ;   in Loop: Header=BB6_6 Depth=1
	s_or_b32 exec_lo, exec_lo, s60
	s_waitcnt_vscnt null, 0x0
	s_barrier
	buffer_gl0_inv
	ds_load_b32 v3, v4 offset:2048
	v_bfrev_b32_e32 v8, -2
	s_mov_b32 s60, exec_lo
	s_waitcnt lgkmcnt(0)
	v_sub_nc_u32_e32 v15, v3, v1
	v_mov_b32_e32 v3, 0
	s_delay_alu instid0(VALU_DEP_2)
	v_cmpx_gt_i32_e64 v15, v0
	s_cbranch_execz .LBB6_85
; %bb.82:                               ;   in Loop: Header=BB6_6 Depth=1
	v_lshlrev_b64 v[13:14], 3, v[11:12]
	v_dual_mov_b32 v3, 0 :: v_dual_mov_b32 v16, v0
	v_bfrev_b32_e32 v8, -2
	s_mov_b32 s61, 0
	s_delay_alu instid0(VALU_DEP_3) | instskip(NEXT) | instid1(VALU_DEP_4)
	v_add_co_u32 v13, vcc_lo, v13, v9
	v_add_co_ci_u32_e32 v14, vcc_lo, v14, v10, vcc_lo
	s_delay_alu instid0(VALU_DEP_2) | instskip(NEXT) | instid1(VALU_DEP_2)
	v_add_co_u32 v13, vcc_lo, v31, v13
	v_add_co_ci_u32_e32 v14, vcc_lo, v32, v14, vcc_lo
	.p2align	6
.LBB6_83:                               ;   Parent Loop BB6_6 Depth=1
                                        ; =>  This Inner Loop Header: Depth=2
	global_load_b64 v[17:18], v[13:14], off offset:-4
	v_add_co_u32 v13, s7, 0x800, v13
	s_delay_alu instid0(VALU_DEP_1)
	v_add_co_ci_u32_e64 v14, s7, 0, v14, s7
	s_waitcnt vmcnt(0)
	v_cmp_gt_f32_e32 vcc_lo, 0, v17
	v_cndmask_b32_e64 v17, v17, -v17, vcc_lo
	v_cmp_gt_f32_e32 vcc_lo, 0, v18
	v_cndmask_b32_e64 v18, v18, -v18, vcc_lo
	v_cmp_eq_u32_e32 vcc_lo, 0x7fffffff, v8
	s_delay_alu instid0(VALU_DEP_2) | instskip(NEXT) | instid1(VALU_DEP_1)
	v_dual_add_f32 v17, v17, v18 :: v_dual_add_nc_u32 v18, 1, v16
	v_cmp_lt_f32_e64 s6, v3, v17
	s_delay_alu instid0(VALU_DEP_1) | instskip(SKIP_1) | instid1(VALU_DEP_3)
	s_or_b32 vcc_lo, s6, vcc_lo
	v_dual_cndmask_b32 v3, v3, v17 :: v_dual_add_nc_u32 v16, 0x100, v16
	v_cndmask_b32_e32 v8, v8, v18, vcc_lo
	s_delay_alu instid0(VALU_DEP_2) | instskip(NEXT) | instid1(VALU_DEP_1)
	v_cmp_ge_i32_e64 s7, v16, v15
	s_or_b32 s61, s7, s61
	s_delay_alu instid0(SALU_CYCLE_1)
	s_and_not1_b32 exec_lo, exec_lo, s61
	s_cbranch_execnz .LBB6_83
; %bb.84:                               ;   in Loop: Header=BB6_6 Depth=1
	s_or_b32 exec_lo, exec_lo, s61
.LBB6_85:                               ;   in Loop: Header=BB6_6 Depth=1
	s_delay_alu instid0(SALU_CYCLE_1) | instskip(NEXT) | instid1(SALU_CYCLE_1)
	s_or_b32 exec_lo, exec_lo, s60
	s_mov_b32 s60, exec_lo
	ds_store_b32 v24, v3
	ds_store_b32 v23, v8
	s_waitcnt lgkmcnt(0)
	s_barrier
	buffer_gl0_inv
	v_cmpx_lt_i32_e32 1, v15
	s_cbranch_execz .LBB6_121
; %bb.86:                               ;   in Loop: Header=BB6_6 Depth=1
	s_and_saveexec_b32 s7, s0
	s_cbranch_execz .LBB6_92
; %bb.87:                               ;   in Loop: Header=BB6_6 Depth=1
	ds_load_b32 v13, v24 offset:512
	ds_load_b32 v14, v23 offset:512
	s_mov_b32 s62, exec_lo
	s_waitcnt lgkmcnt(1)
	v_cmp_lt_f32_e64 s61, v3, v13
	v_cmpx_nlt_f32_e32 v3, v13
	s_cbranch_execz .LBB6_89
; %bb.88:                               ;   in Loop: Header=BB6_6 Depth=1
	v_cmp_eq_f32_e32 vcc_lo, v3, v13
	s_waitcnt lgkmcnt(0)
	v_cmp_gt_i32_e64 s6, v8, v14
	s_and_not1_b32 s61, s61, exec_lo
	s_delay_alu instid0(VALU_DEP_1) | instskip(NEXT) | instid1(SALU_CYCLE_1)
	s_and_b32 s6, vcc_lo, s6
	s_and_b32 s6, s6, exec_lo
	s_delay_alu instid0(SALU_CYCLE_1)
	s_or_b32 s61, s61, s6
.LBB6_89:                               ;   in Loop: Header=BB6_6 Depth=1
	s_or_b32 exec_lo, exec_lo, s62
	s_delay_alu instid0(VALU_DEP_2)
	s_and_saveexec_b32 s6, s61
	s_cbranch_execz .LBB6_91
; %bb.90:                               ;   in Loop: Header=BB6_6 Depth=1
	s_waitcnt lgkmcnt(0)
	v_dual_mov_b32 v3, v13 :: v_dual_mov_b32 v8, v14
	ds_store_b32 v24, v13
	ds_store_b32 v23, v14
.LBB6_91:                               ;   in Loop: Header=BB6_6 Depth=1
	s_or_b32 exec_lo, exec_lo, s6
.LBB6_92:                               ;   in Loop: Header=BB6_6 Depth=1
	s_delay_alu instid0(SALU_CYCLE_1)
	s_or_b32 exec_lo, exec_lo, s7
	s_waitcnt lgkmcnt(0)
	s_barrier
	buffer_gl0_inv
	s_and_saveexec_b32 s7, s1
	s_cbranch_execz .LBB6_98
; %bb.93:                               ;   in Loop: Header=BB6_6 Depth=1
	ds_load_b32 v13, v24 offset:256
	ds_load_b32 v14, v23 offset:256
	s_mov_b32 s62, exec_lo
	s_waitcnt lgkmcnt(1)
	v_cmp_lt_f32_e64 s61, v3, v13
	v_cmpx_nlt_f32_e32 v3, v13
	s_cbranch_execz .LBB6_95
; %bb.94:                               ;   in Loop: Header=BB6_6 Depth=1
	v_cmp_eq_f32_e32 vcc_lo, v3, v13
	s_waitcnt lgkmcnt(0)
	v_cmp_gt_i32_e64 s6, v8, v14
	s_and_not1_b32 s61, s61, exec_lo
	s_delay_alu instid0(VALU_DEP_1) | instskip(NEXT) | instid1(SALU_CYCLE_1)
	s_and_b32 s6, vcc_lo, s6
	s_and_b32 s6, s6, exec_lo
	s_delay_alu instid0(SALU_CYCLE_1)
	s_or_b32 s61, s61, s6
.LBB6_95:                               ;   in Loop: Header=BB6_6 Depth=1
	s_or_b32 exec_lo, exec_lo, s62
	s_delay_alu instid0(VALU_DEP_2)
	s_and_saveexec_b32 s6, s61
	s_cbranch_execz .LBB6_97
; %bb.96:                               ;   in Loop: Header=BB6_6 Depth=1
	s_waitcnt lgkmcnt(0)
	v_dual_mov_b32 v3, v13 :: v_dual_mov_b32 v8, v14
	ds_store_b32 v24, v13
	ds_store_b32 v23, v14
.LBB6_97:                               ;   in Loop: Header=BB6_6 Depth=1
	s_or_b32 exec_lo, exec_lo, s6
.LBB6_98:                               ;   in Loop: Header=BB6_6 Depth=1
	s_delay_alu instid0(SALU_CYCLE_1)
	s_or_b32 exec_lo, exec_lo, s7
	s_waitcnt lgkmcnt(0)
	s_barrier
	buffer_gl0_inv
	s_and_b32 exec_lo, exec_lo, s3
	s_cbranch_execz .LBB6_121
; %bb.99:                               ;   in Loop: Header=BB6_6 Depth=1
	ds_load_b32 v13, v24 offset:128
	ds_load_b32 v14, v23 offset:128
	s_mov_b32 s61, exec_lo
	s_waitcnt lgkmcnt(1)
	v_cmp_lt_f32_e64 s7, v3, v13
	v_cmpx_nlt_f32_e32 v3, v13
	s_cbranch_execz .LBB6_101
; %bb.100:                              ;   in Loop: Header=BB6_6 Depth=1
	v_cmp_eq_f32_e32 vcc_lo, v3, v13
	s_waitcnt lgkmcnt(0)
	v_cmp_gt_i32_e64 s6, v8, v14
	s_and_not1_b32 s7, s7, exec_lo
	s_delay_alu instid0(VALU_DEP_1) | instskip(NEXT) | instid1(SALU_CYCLE_1)
	s_and_b32 s6, vcc_lo, s6
	s_and_b32 s6, s6, exec_lo
	s_delay_alu instid0(SALU_CYCLE_1)
	s_or_b32 s7, s7, s6
.LBB6_101:                              ;   in Loop: Header=BB6_6 Depth=1
	s_or_b32 exec_lo, exec_lo, s61
	s_delay_alu instid0(VALU_DEP_2)
	s_and_saveexec_b32 s6, s7
	s_cbranch_execz .LBB6_103
; %bb.102:                              ;   in Loop: Header=BB6_6 Depth=1
	s_waitcnt lgkmcnt(0)
	v_dual_mov_b32 v8, v14 :: v_dual_mov_b32 v3, v13
	ds_store_b32 v24, v13
	ds_store_b32 v23, v14
.LBB6_103:                              ;   in Loop: Header=BB6_6 Depth=1
	s_or_b32 exec_lo, exec_lo, s6
	ds_load_b32 v13, v24 offset:64
	s_waitcnt lgkmcnt(1)
	ds_load_b32 v14, v23 offset:64
	s_mov_b32 s61, exec_lo
	s_waitcnt lgkmcnt(1)
	v_cmp_lt_f32_e64 s7, v3, v13
	v_cmpx_nlt_f32_e32 v3, v13
	s_cbranch_execz .LBB6_105
; %bb.104:                              ;   in Loop: Header=BB6_6 Depth=1
	v_cmp_eq_f32_e32 vcc_lo, v3, v13
	s_waitcnt lgkmcnt(0)
	v_cmp_gt_i32_e64 s6, v8, v14
	s_and_not1_b32 s7, s7, exec_lo
	s_delay_alu instid0(VALU_DEP_1) | instskip(NEXT) | instid1(SALU_CYCLE_1)
	s_and_b32 s6, vcc_lo, s6
	s_and_b32 s6, s6, exec_lo
	s_delay_alu instid0(SALU_CYCLE_1)
	s_or_b32 s7, s7, s6
.LBB6_105:                              ;   in Loop: Header=BB6_6 Depth=1
	s_or_b32 exec_lo, exec_lo, s61
	s_delay_alu instid0(VALU_DEP_2)
	s_and_saveexec_b32 s6, s7
	s_cbranch_execz .LBB6_107
; %bb.106:                              ;   in Loop: Header=BB6_6 Depth=1
	s_waitcnt lgkmcnt(0)
	v_dual_mov_b32 v8, v14 :: v_dual_mov_b32 v3, v13
	ds_store_b32 v24, v13
	ds_store_b32 v23, v14
.LBB6_107:                              ;   in Loop: Header=BB6_6 Depth=1
	s_or_b32 exec_lo, exec_lo, s6
	ds_load_b32 v13, v24 offset:32
	s_waitcnt lgkmcnt(1)
	;; [unrolled: 30-line block ×5, first 2 shown]
	ds_load_b32 v14, v23 offset:4
	s_waitcnt lgkmcnt(1)
	v_cmp_eq_f32_e32 vcc_lo, v3, v13
	s_waitcnt lgkmcnt(0)
	v_cmp_gt_i32_e64 s6, v8, v14
	v_cmp_lt_f32_e64 s7, v3, v13
	s_delay_alu instid0(VALU_DEP_2)
	s_and_b32 s6, vcc_lo, s6
	s_delay_alu instid0(VALU_DEP_1) | instid1(SALU_CYCLE_1)
	s_or_b32 s6, s7, s6
	s_delay_alu instid0(SALU_CYCLE_1)
	s_and_b32 exec_lo, exec_lo, s6
	s_cbranch_execz .LBB6_121
; %bb.120:                              ;   in Loop: Header=BB6_6 Depth=1
	ds_store_b32 v24, v13
	ds_store_b32 v23, v14
.LBB6_121:                              ;   in Loop: Header=BB6_6 Depth=1
	s_or_b32 exec_lo, exec_lo, s60
	s_and_saveexec_b32 s6, s2
	s_cbranch_execz .LBB6_123
; %bb.122:                              ;   in Loop: Header=BB6_6 Depth=1
	ds_load_b32 v3, v4 offset:1024
	s_waitcnt lgkmcnt(0)
	ds_store_b32 v4, v3 offset:2064
.LBB6_123:                              ;   in Loop: Header=BB6_6 Depth=1
	s_or_b32 exec_lo, exec_lo, s6
	ds_load_b32 v3, v4 offset:2048
	s_waitcnt lgkmcnt(0)
	v_cmp_le_i32_e32 vcc_lo, s44, v3
	v_readfirstlane_b32 s6, v3
	s_cbranch_vccnz .LBB6_168
; %bb.124:                              ;   in Loop: Header=BB6_6 Depth=1
	v_mov_b32_e32 v3, 0
	v_bfrev_b32_e32 v8, -2
	s_delay_alu instid0(VALU_DEP_3) | instskip(SKIP_2) | instid1(SALU_CYCLE_1)
	s_not_b32 s60, s6
	s_mov_b32 s61, exec_lo
	s_add_i32 s60, s60, s18
	v_cmpx_gt_i32_e64 s60, v0
	s_cbranch_execz .LBB6_128
; %bb.125:                              ;   in Loop: Header=BB6_6 Depth=1
	v_lshlrev_b64 v[12:13], 3, v[11:12]
	s_ashr_i32 s7, s6, 31
	v_dual_mov_b32 v3, 0 :: v_dual_mov_b32 v14, v0
	s_lshl_b64 s[6:7], s[6:7], 3
	s_mov_b32 s62, 0
	s_delay_alu instid0(VALU_DEP_2) | instskip(SKIP_1) | instid1(VALU_DEP_2)
	v_add_co_u32 v8, vcc_lo, v12, s6
	v_add_co_ci_u32_e32 v13, vcc_lo, s7, v13, vcc_lo
	v_add_co_u32 v12, vcc_lo, v28, v8
	s_delay_alu instid0(VALU_DEP_2)
	v_add_co_ci_u32_e32 v13, vcc_lo, v29, v13, vcc_lo
	v_bfrev_b32_e32 v8, -2
	.p2align	6
.LBB6_126:                              ;   Parent Loop BB6_6 Depth=1
                                        ; =>  This Inner Loop Header: Depth=2
	global_load_b64 v[15:16], v[12:13], off
	v_add_co_u32 v12, s7, 0x800, v12
	s_delay_alu instid0(VALU_DEP_1)
	v_add_co_ci_u32_e64 v13, s7, 0, v13, s7
	s_waitcnt vmcnt(0)
	v_cmp_gt_f32_e32 vcc_lo, 0, v15
	v_cndmask_b32_e64 v15, v15, -v15, vcc_lo
	v_cmp_gt_f32_e32 vcc_lo, 0, v16
	v_cndmask_b32_e64 v16, v16, -v16, vcc_lo
	v_cmp_eq_u32_e32 vcc_lo, 0x7fffffff, v8
	s_delay_alu instid0(VALU_DEP_2) | instskip(NEXT) | instid1(VALU_DEP_1)
	v_dual_add_f32 v15, v15, v16 :: v_dual_add_nc_u32 v16, 1, v14
	v_cmp_lt_f32_e64 s6, v3, v15
	s_delay_alu instid0(VALU_DEP_1) | instskip(SKIP_1) | instid1(VALU_DEP_3)
	s_or_b32 vcc_lo, s6, vcc_lo
	v_dual_cndmask_b32 v3, v3, v15 :: v_dual_add_nc_u32 v14, 0x100, v14
	v_cndmask_b32_e32 v8, v8, v16, vcc_lo
	s_delay_alu instid0(VALU_DEP_2) | instskip(NEXT) | instid1(VALU_DEP_1)
	v_cmp_le_i32_e64 s7, s60, v14
	s_or_b32 s62, s7, s62
	s_delay_alu instid0(SALU_CYCLE_1)
	s_and_not1_b32 exec_lo, exec_lo, s62
	s_cbranch_execnz .LBB6_126
; %bb.127:                              ;   in Loop: Header=BB6_6 Depth=1
	s_or_b32 exec_lo, exec_lo, s62
.LBB6_128:                              ;   in Loop: Header=BB6_6 Depth=1
	s_delay_alu instid0(SALU_CYCLE_1)
	s_or_b32 exec_lo, exec_lo, s61
	s_cmp_lt_i32 s60, 2
	ds_store_b32 v24, v3
	ds_store_b32 v23, v8
	s_waitcnt lgkmcnt(0)
	s_barrier
	buffer_gl0_inv
	s_cbranch_scc1 .LBB6_165
; %bb.129:                              ;   in Loop: Header=BB6_6 Depth=1
	s_and_saveexec_b32 s7, s0
	s_cbranch_execz .LBB6_135
; %bb.130:                              ;   in Loop: Header=BB6_6 Depth=1
	ds_load_b32 v12, v24 offset:512
	ds_load_b32 v13, v23 offset:512
	s_mov_b32 s61, exec_lo
	s_waitcnt lgkmcnt(1)
	v_cmp_lt_f32_e64 s60, v3, v12
	v_cmpx_nlt_f32_e32 v3, v12
	s_cbranch_execz .LBB6_132
; %bb.131:                              ;   in Loop: Header=BB6_6 Depth=1
	v_cmp_eq_f32_e32 vcc_lo, v3, v12
	s_waitcnt lgkmcnt(0)
	v_cmp_gt_i32_e64 s6, v8, v13
	s_and_not1_b32 s60, s60, exec_lo
	s_delay_alu instid0(VALU_DEP_1) | instskip(NEXT) | instid1(SALU_CYCLE_1)
	s_and_b32 s6, vcc_lo, s6
	s_and_b32 s6, s6, exec_lo
	s_delay_alu instid0(SALU_CYCLE_1)
	s_or_b32 s60, s60, s6
.LBB6_132:                              ;   in Loop: Header=BB6_6 Depth=1
	s_or_b32 exec_lo, exec_lo, s61
	s_delay_alu instid0(VALU_DEP_2)
	s_and_saveexec_b32 s6, s60
	s_cbranch_execz .LBB6_134
; %bb.133:                              ;   in Loop: Header=BB6_6 Depth=1
	s_waitcnt lgkmcnt(0)
	v_dual_mov_b32 v3, v12 :: v_dual_mov_b32 v8, v13
	ds_store_b32 v24, v12
	ds_store_b32 v23, v13
.LBB6_134:                              ;   in Loop: Header=BB6_6 Depth=1
	s_or_b32 exec_lo, exec_lo, s6
.LBB6_135:                              ;   in Loop: Header=BB6_6 Depth=1
	s_delay_alu instid0(SALU_CYCLE_1)
	s_or_b32 exec_lo, exec_lo, s7
	s_waitcnt lgkmcnt(0)
	s_barrier
	buffer_gl0_inv
	s_and_saveexec_b32 s7, s1
	s_cbranch_execz .LBB6_141
; %bb.136:                              ;   in Loop: Header=BB6_6 Depth=1
	ds_load_b32 v12, v24 offset:256
	ds_load_b32 v13, v23 offset:256
	s_mov_b32 s61, exec_lo
	s_waitcnt lgkmcnt(1)
	v_cmp_lt_f32_e64 s60, v3, v12
	v_cmpx_nlt_f32_e32 v3, v12
	s_cbranch_execz .LBB6_138
; %bb.137:                              ;   in Loop: Header=BB6_6 Depth=1
	v_cmp_eq_f32_e32 vcc_lo, v3, v12
	s_waitcnt lgkmcnt(0)
	v_cmp_gt_i32_e64 s6, v8, v13
	s_and_not1_b32 s60, s60, exec_lo
	s_delay_alu instid0(VALU_DEP_1) | instskip(NEXT) | instid1(SALU_CYCLE_1)
	s_and_b32 s6, vcc_lo, s6
	s_and_b32 s6, s6, exec_lo
	s_delay_alu instid0(SALU_CYCLE_1)
	s_or_b32 s60, s60, s6
.LBB6_138:                              ;   in Loop: Header=BB6_6 Depth=1
	s_or_b32 exec_lo, exec_lo, s61
	s_delay_alu instid0(VALU_DEP_2)
	s_and_saveexec_b32 s6, s60
	s_cbranch_execz .LBB6_140
; %bb.139:                              ;   in Loop: Header=BB6_6 Depth=1
	s_waitcnt lgkmcnt(0)
	v_dual_mov_b32 v3, v12 :: v_dual_mov_b32 v8, v13
	ds_store_b32 v24, v12
	ds_store_b32 v23, v13
.LBB6_140:                              ;   in Loop: Header=BB6_6 Depth=1
	s_or_b32 exec_lo, exec_lo, s6
.LBB6_141:                              ;   in Loop: Header=BB6_6 Depth=1
	s_delay_alu instid0(SALU_CYCLE_1)
	s_or_b32 exec_lo, exec_lo, s7
	s_waitcnt lgkmcnt(0)
	s_barrier
	buffer_gl0_inv
	s_and_saveexec_b32 s60, s3
	s_cbranch_execz .LBB6_164
; %bb.142:                              ;   in Loop: Header=BB6_6 Depth=1
	ds_load_b32 v12, v24 offset:128
	ds_load_b32 v13, v23 offset:128
	s_mov_b32 s61, exec_lo
	s_waitcnt lgkmcnt(1)
	v_cmp_lt_f32_e64 s7, v3, v12
	v_cmpx_nlt_f32_e32 v3, v12
	s_cbranch_execz .LBB6_144
; %bb.143:                              ;   in Loop: Header=BB6_6 Depth=1
	v_cmp_eq_f32_e32 vcc_lo, v3, v12
	s_waitcnt lgkmcnt(0)
	v_cmp_gt_i32_e64 s6, v8, v13
	s_and_not1_b32 s7, s7, exec_lo
	s_delay_alu instid0(VALU_DEP_1) | instskip(NEXT) | instid1(SALU_CYCLE_1)
	s_and_b32 s6, vcc_lo, s6
	s_and_b32 s6, s6, exec_lo
	s_delay_alu instid0(SALU_CYCLE_1)
	s_or_b32 s7, s7, s6
.LBB6_144:                              ;   in Loop: Header=BB6_6 Depth=1
	s_or_b32 exec_lo, exec_lo, s61
	s_delay_alu instid0(VALU_DEP_2)
	s_and_saveexec_b32 s6, s7
	s_cbranch_execz .LBB6_146
; %bb.145:                              ;   in Loop: Header=BB6_6 Depth=1
	s_waitcnt lgkmcnt(0)
	v_dual_mov_b32 v8, v13 :: v_dual_mov_b32 v3, v12
	ds_store_b32 v24, v12
	ds_store_b32 v23, v13
.LBB6_146:                              ;   in Loop: Header=BB6_6 Depth=1
	s_or_b32 exec_lo, exec_lo, s6
	ds_load_b32 v12, v24 offset:64
	s_waitcnt lgkmcnt(1)
	ds_load_b32 v13, v23 offset:64
	s_mov_b32 s61, exec_lo
	s_waitcnt lgkmcnt(1)
	v_cmp_lt_f32_e64 s7, v3, v12
	v_cmpx_nlt_f32_e32 v3, v12
	s_cbranch_execz .LBB6_148
; %bb.147:                              ;   in Loop: Header=BB6_6 Depth=1
	v_cmp_eq_f32_e32 vcc_lo, v3, v12
	s_waitcnt lgkmcnt(0)
	v_cmp_gt_i32_e64 s6, v8, v13
	s_and_not1_b32 s7, s7, exec_lo
	s_delay_alu instid0(VALU_DEP_1) | instskip(NEXT) | instid1(SALU_CYCLE_1)
	s_and_b32 s6, vcc_lo, s6
	s_and_b32 s6, s6, exec_lo
	s_delay_alu instid0(SALU_CYCLE_1)
	s_or_b32 s7, s7, s6
.LBB6_148:                              ;   in Loop: Header=BB6_6 Depth=1
	s_or_b32 exec_lo, exec_lo, s61
	s_delay_alu instid0(VALU_DEP_2)
	s_and_saveexec_b32 s6, s7
	s_cbranch_execz .LBB6_150
; %bb.149:                              ;   in Loop: Header=BB6_6 Depth=1
	s_waitcnt lgkmcnt(0)
	v_dual_mov_b32 v8, v13 :: v_dual_mov_b32 v3, v12
	ds_store_b32 v24, v12
	ds_store_b32 v23, v13
.LBB6_150:                              ;   in Loop: Header=BB6_6 Depth=1
	s_or_b32 exec_lo, exec_lo, s6
	ds_load_b32 v12, v24 offset:32
	s_waitcnt lgkmcnt(1)
	;; [unrolled: 30-line block ×5, first 2 shown]
	ds_load_b32 v13, v23 offset:4
	s_waitcnt lgkmcnt(1)
	v_cmp_eq_f32_e32 vcc_lo, v3, v12
	s_waitcnt lgkmcnt(0)
	v_cmp_gt_i32_e64 s6, v8, v13
	v_cmp_lt_f32_e64 s7, v3, v12
	s_delay_alu instid0(VALU_DEP_2)
	s_and_b32 s6, vcc_lo, s6
	s_delay_alu instid0(VALU_DEP_1) | instid1(SALU_CYCLE_1)
	s_or_b32 s6, s7, s6
	s_delay_alu instid0(SALU_CYCLE_1)
	s_and_b32 exec_lo, exec_lo, s6
	s_cbranch_execz .LBB6_164
; %bb.163:                              ;   in Loop: Header=BB6_6 Depth=1
	ds_store_b32 v24, v12
	ds_store_b32 v23, v13
.LBB6_164:                              ;   in Loop: Header=BB6_6 Depth=1
	s_or_b32 exec_lo, exec_lo, s60
.LBB6_165:                              ;   in Loop: Header=BB6_6 Depth=1
	s_and_saveexec_b32 s6, s2
	s_cbranch_execz .LBB6_167
; %bb.166:                              ;   in Loop: Header=BB6_6 Depth=1
	ds_load_b32 v3, v4 offset:2064
	ds_load_b32 v8, v4 offset:1024
	s_waitcnt lgkmcnt(0)
	v_cmp_lt_f32_e32 vcc_lo, v3, v8
	v_cndmask_b32_e32 v3, v3, v8, vcc_lo
	ds_store_b32 v4, v3 offset:2064
.LBB6_167:                              ;   in Loop: Header=BB6_6 Depth=1
	s_or_b32 exec_lo, exec_lo, s6
.LBB6_168:                              ;   in Loop: Header=BB6_6 Depth=1
	s_waitcnt lgkmcnt(0)
	s_barrier
	buffer_gl0_inv
	ds_load_b64 v[12:13], v4 offset:2056
	ds_load_b32 v8, v4 offset:2064
	s_waitcnt lgkmcnt(0)
	v_div_scale_f32 v3, null, v8, v8, v13
	s_delay_alu instid0(VALU_DEP_1) | instskip(SKIP_2) | instid1(VALU_DEP_1)
	v_rcp_f32_e32 v14, v3
	s_waitcnt_depctr 0xfff
	v_fma_f32 v15, -v3, v14, 1.0
	v_fmac_f32_e32 v14, v15, v14
	v_div_scale_f32 v15, vcc_lo, v13, v8, v13
	s_delay_alu instid0(VALU_DEP_1) | instskip(NEXT) | instid1(VALU_DEP_1)
	v_mul_f32_e32 v16, v15, v14
	v_fma_f32 v17, -v3, v16, v15
	s_delay_alu instid0(VALU_DEP_1) | instskip(NEXT) | instid1(VALU_DEP_1)
	v_fmac_f32_e32 v16, v17, v14
	v_fma_f32 v3, -v3, v16, v15
	s_delay_alu instid0(VALU_DEP_1) | instskip(SKIP_1) | instid1(VALU_DEP_2)
	v_div_fmas_f32 v3, v3, v14, v16
	v_mul_f32_e32 v14, 0x3f23f07b, v13
	v_div_fixup_f32 v3, v3, v8, v13
	s_delay_alu instid0(VALU_DEP_1) | instskip(NEXT) | instid1(VALU_DEP_1)
	v_mul_f32_e32 v3, v14, v3
	v_cmp_ge_f32_e32 vcc_lo, v12, v3
	s_cbranch_vccnz .LBB6_175
; %bb.169:                              ;   in Loop: Header=BB6_6 Depth=1
	ds_load_b32 v3, v4 offset:2048
	v_mul_f32_e32 v8, 0x3f23f07b, v8
	s_mov_b32 s60, 0
	s_mov_b32 s6, exec_lo
	s_waitcnt lgkmcnt(0)
	v_dual_mov_b32 v15, 2 :: v_dual_add_nc_u32 v12, v3, v11
	s_delay_alu instid0(VALU_DEP_1) | instskip(NEXT) | instid1(VALU_DEP_1)
	v_ashrrev_i32_e32 v13, 31, v12
	v_lshlrev_b64 v[12:13], 3, v[12:13]
	s_delay_alu instid0(VALU_DEP_1) | instskip(NEXT) | instid1(VALU_DEP_2)
	v_add_co_u32 v12, vcc_lo, s20, v12
	v_add_co_ci_u32_e32 v13, vcc_lo, s21, v13, vcc_lo
	global_load_b64 v[12:13], v[12:13], off
	s_waitcnt vmcnt(0)
	v_cmp_gt_f32_e32 vcc_lo, 0, v12
	v_cndmask_b32_e64 v12, v12, -v12, vcc_lo
	v_cmp_gt_f32_e32 vcc_lo, 0, v13
	v_cndmask_b32_e64 v13, v13, -v13, vcc_lo
	s_delay_alu instid0(VALU_DEP_1) | instskip(NEXT) | instid1(VALU_DEP_1)
	v_add_f32_e32 v12, v12, v13
	v_cmpx_ge_f32_e32 v12, v8
	s_cbranch_execz .LBB6_174
; %bb.170:                              ;   in Loop: Header=BB6_6 Depth=1
	s_and_saveexec_b32 s7, s5
	s_cbranch_execz .LBB6_173
; %bb.171:                              ;   in Loop: Header=BB6_6 Depth=1
	v_add3_u32 v12, v0, v7, v1
	v_add3_u32 v14, v0, v11, v1
	v_mov_b32_e32 v8, v0
	s_delay_alu instid0(VALU_DEP_3) | instskip(NEXT) | instid1(VALU_DEP_3)
	v_ashrrev_i32_e32 v13, 31, v12
	v_ashrrev_i32_e32 v15, 31, v14
	s_delay_alu instid0(VALU_DEP_2) | instskip(NEXT) | instid1(VALU_DEP_2)
	v_lshlrev_b64 v[11:12], 3, v[12:13]
	v_lshlrev_b64 v[13:14], 3, v[14:15]
	s_delay_alu instid0(VALU_DEP_2) | instskip(NEXT) | instid1(VALU_DEP_3)
	v_add_co_u32 v11, vcc_lo, s50, v11
	v_add_co_ci_u32_e32 v12, vcc_lo, s51, v12, vcc_lo
	s_delay_alu instid0(VALU_DEP_3) | instskip(NEXT) | instid1(VALU_DEP_4)
	v_add_co_u32 v13, vcc_lo, s50, v13
	v_add_co_ci_u32_e32 v14, vcc_lo, s51, v14, vcc_lo
	.p2align	6
.LBB6_172:                              ;   Parent Loop BB6_6 Depth=1
                                        ; =>  This Inner Loop Header: Depth=2
	global_load_b64 v[15:16], v[13:14], off
	v_add_nc_u32_e32 v8, 0x100, v8
	v_add_co_u32 v13, vcc_lo, 0x800, v13
	v_add_co_ci_u32_e32 v14, vcc_lo, 0, v14, vcc_lo
	s_delay_alu instid0(VALU_DEP_3) | instskip(SKIP_4) | instid1(VALU_DEP_1)
	v_cmp_ge_i32_e32 vcc_lo, v8, v38
	s_or_b32 s60, vcc_lo, s60
	s_waitcnt vmcnt(0)
	global_store_b64 v[11:12], v[15:16], off
	v_add_co_u32 v11, s5, 0x800, v11
	v_add_co_ci_u32_e64 v12, s5, 0, v12, s5
	s_and_not1_b32 exec_lo, exec_lo, s60
	s_cbranch_execnz .LBB6_172
.LBB6_173:                              ;   in Loop: Header=BB6_6 Depth=1
	s_or_b32 exec_lo, exec_lo, s7
	v_mov_b32_e32 v15, 1
	s_mov_b32 s60, exec_lo
	s_waitcnt_vscnt null, 0x0
	s_barrier
	buffer_gl0_inv
.LBB6_174:                              ;   in Loop: Header=BB6_6 Depth=1
	s_or_b32 exec_lo, exec_lo, s6
	s_branch .LBB6_176
.LBB6_175:                              ;   in Loop: Header=BB6_6 Depth=1
	v_mov_b32_e32 v15, 1
	v_mov_b32_e32 v3, v1
	s_mov_b32 s60, -1
.LBB6_176:                              ;   in Loop: Header=BB6_6 Depth=1
	s_delay_alu instid0(VALU_DEP_2) | instskip(SKIP_1) | instid1(VALU_DEP_1)
	v_add_nc_u32_e32 v8, v15, v1
	s_mov_b32 s61, exec_lo
	v_add_nc_u32_e32 v16, -1, v8
	s_delay_alu instid0(VALU_DEP_1)
	v_cmpx_ne_u32_e64 v3, v16
	s_cbranch_execz .LBB6_192
; %bb.177:                              ;   in Loop: Header=BB6_6 Depth=1
	s_and_saveexec_b32 s5, s2
	s_cbranch_execz .LBB6_179
; %bb.178:                              ;   in Loop: Header=BB6_6 Depth=1
	v_mul_lo_u32 v11, v16, s45
	v_mul_lo_u32 v13, v3, s45
	s_delay_alu instid0(VALU_DEP_2) | instskip(NEXT) | instid1(VALU_DEP_2)
	v_ashrrev_i32_e32 v12, 31, v11
	v_ashrrev_i32_e32 v14, 31, v13
	s_delay_alu instid0(VALU_DEP_2) | instskip(NEXT) | instid1(VALU_DEP_2)
	v_lshlrev_b64 v[11:12], 3, v[11:12]
	v_lshlrev_b64 v[13:14], 3, v[13:14]
	s_delay_alu instid0(VALU_DEP_2) | instskip(NEXT) | instid1(VALU_DEP_3)
	v_add_co_u32 v11, vcc_lo, s16, v11
	v_add_co_ci_u32_e32 v12, vcc_lo, s33, v12, vcc_lo
	s_delay_alu instid0(VALU_DEP_3) | instskip(NEXT) | instid1(VALU_DEP_4)
	v_add_co_u32 v13, vcc_lo, s16, v13
	v_add_co_ci_u32_e32 v14, vcc_lo, s33, v14, vcc_lo
	global_load_b64 v[11:12], v[11:12], off
	s_waitcnt vmcnt(0)
	global_store_b64 v[13:14], v[11:12], off
.LBB6_179:                              ;   in Loop: Header=BB6_6 Depth=1
	s_or_b32 exec_lo, exec_lo, s5
	v_sub_nc_u32_e32 v17, v3, v8
	s_mov_b32 s6, exec_lo
	s_delay_alu instid0(VALU_DEP_1)
	v_cmpx_gt_i32_e64 v17, v0
	s_cbranch_execz .LBB6_182
; %bb.180:                              ;   in Loop: Header=BB6_6 Depth=1
	v_add3_u32 v13, v0, v15, v1
	s_mov_b32 s7, 0
	s_delay_alu instid0(VALU_DEP_1)
	v_mad_u64_u32 v[11:12], null, s17, v13, v[3:4]
	v_mad_u64_u32 v[13:14], null, v16, s17, v[8:9]
	v_mov_b32_e32 v14, v0
	.p2align	6
.LBB6_181:                              ;   Parent Loop BB6_6 Depth=1
                                        ; =>  This Inner Loop Header: Depth=2
	s_delay_alu instid0(VALU_DEP_1) | instskip(NEXT) | instid1(VALU_DEP_4)
	v_add_nc_u32_e32 v18, v13, v14
	v_ashrrev_i32_e32 v12, 31, v11
	v_add_nc_u32_e32 v14, 0x100, v14
	s_delay_alu instid0(VALU_DEP_3) | instskip(NEXT) | instid1(VALU_DEP_3)
	v_ashrrev_i32_e32 v19, 31, v18
	v_lshlrev_b64 v[38:39], 3, v[11:12]
	v_add_nc_u32_e32 v11, s8, v11
	s_delay_alu instid0(VALU_DEP_3) | instskip(NEXT) | instid1(VALU_DEP_3)
	v_lshlrev_b64 v[18:19], 3, v[18:19]
	v_add_co_u32 v38, s5, s16, v38
	s_delay_alu instid0(VALU_DEP_1) | instskip(NEXT) | instid1(VALU_DEP_3)
	v_add_co_ci_u32_e64 v39, s5, s33, v39, s5
	v_add_co_u32 v18, vcc_lo, s16, v18
	s_delay_alu instid0(VALU_DEP_4)
	v_add_co_ci_u32_e32 v19, vcc_lo, s33, v19, vcc_lo
	v_cmp_ge_i32_e32 vcc_lo, v14, v17
	global_load_b64 v[18:19], v[18:19], off
	s_or_b32 s7, vcc_lo, s7
	s_waitcnt vmcnt(0)
	global_store_b64 v[38:39], v[18:19], off
	s_and_not1_b32 exec_lo, exec_lo, s7
	s_cbranch_execnz .LBB6_181
.LBB6_182:                              ;   in Loop: Header=BB6_6 Depth=1
	s_or_b32 exec_lo, exec_lo, s6
	v_xad_u32 v13, v3, -1, s18
	s_mov_b32 s6, exec_lo
	s_delay_alu instid0(VALU_DEP_1)
	v_cmpx_gt_i32_e64 v13, v0
	s_cbranch_execz .LBB6_185
; %bb.183:                              ;   in Loop: Header=BB6_6 Depth=1
	v_mul_lo_u32 v14, v16, s17
	v_mad_u64_u32 v[11:12], null, s45, v3, 1
	s_mov_b32 s7, 0
	s_delay_alu instid0(VALU_DEP_2)
	v_add3_u32 v12, v3, v14, 1
	v_mov_b32_e32 v14, v0
	.p2align	6
.LBB6_184:                              ;   Parent Loop BB6_6 Depth=1
                                        ; =>  This Inner Loop Header: Depth=2
	s_delay_alu instid0(VALU_DEP_1) | instskip(NEXT) | instid1(VALU_DEP_4)
	v_add_nc_u32_e32 v16, v12, v14
	v_add_nc_u32_e32 v18, v11, v14
	;; [unrolled: 1-line block ×3, first 2 shown]
	s_delay_alu instid0(VALU_DEP_3) | instskip(NEXT) | instid1(VALU_DEP_3)
	v_ashrrev_i32_e32 v17, 31, v16
	v_ashrrev_i32_e32 v19, 31, v18
	s_delay_alu instid0(VALU_DEP_2) | instskip(NEXT) | instid1(VALU_DEP_2)
	v_lshlrev_b64 v[16:17], 3, v[16:17]
	v_lshlrev_b64 v[18:19], 3, v[18:19]
	s_delay_alu instid0(VALU_DEP_2) | instskip(NEXT) | instid1(VALU_DEP_3)
	v_add_co_u32 v16, vcc_lo, s16, v16
	v_add_co_ci_u32_e32 v17, vcc_lo, s33, v17, vcc_lo
	v_cmp_ge_i32_e32 vcc_lo, v14, v13
	s_delay_alu instid0(VALU_DEP_4)
	v_add_co_u32 v18, s5, s16, v18
	global_load_b64 v[16:17], v[16:17], off
	v_add_co_ci_u32_e64 v19, s5, s33, v19, s5
	s_or_b32 s7, vcc_lo, s7
	s_waitcnt vmcnt(0)
	global_store_b64 v[18:19], v[16:17], off
	s_and_not1_b32 exec_lo, exec_lo, s7
	s_cbranch_execnz .LBB6_184
.LBB6_185:                              ;   in Loop: Header=BB6_6 Depth=1
	s_or_b32 exec_lo, exec_lo, s6
	s_delay_alu instid0(SALU_CYCLE_1)
	s_mov_b32 s5, exec_lo
	s_waitcnt_vscnt null, 0x0
	s_barrier
	buffer_gl0_inv
	v_cmpx_gt_u32_e64 v1, v0
	s_cbranch_execz .LBB6_188
; %bb.186:                              ;   in Loop: Header=BB6_6 Depth=1
	v_ashrrev_i32_e32 v11, 31, v8
	v_dual_mov_b32 v12, v33 :: v_dual_mov_b32 v13, v0
	s_mov_b32 s6, 0
	.p2align	6
.LBB6_187:                              ;   Parent Loop BB6_6 Depth=1
                                        ; =>  This Inner Loop Header: Depth=2
	s_delay_alu instid0(VALU_DEP_1) | instskip(SKIP_3) | instid1(VALU_DEP_4)
	v_add_nc_u32_e32 v16, v3, v12
	v_ashrrev_i32_e32 v14, 31, v12
	v_add_co_u32 v18, vcc_lo, v12, v8
	v_add_nc_u32_e32 v13, 0x100, v13
	v_ashrrev_i32_e32 v17, 31, v16
	s_delay_alu instid0(VALU_DEP_4) | instskip(SKIP_1) | instid1(VALU_DEP_3)
	v_add_co_ci_u32_e32 v19, vcc_lo, v14, v11, vcc_lo
	v_add_nc_u32_e32 v12, s8, v12
	v_lshlrev_b64 v[16:17], 3, v[16:17]
	s_delay_alu instid0(VALU_DEP_3) | instskip(NEXT) | instid1(VALU_DEP_2)
	v_lshlrev_b64 v[18:19], 3, v[18:19]
	v_add_co_u32 v16, vcc_lo, s16, v16
	s_delay_alu instid0(VALU_DEP_3) | instskip(NEXT) | instid1(VALU_DEP_3)
	v_add_co_ci_u32_e32 v17, vcc_lo, s33, v17, vcc_lo
	v_add_co_u32 v18, vcc_lo, s48, v18
	s_delay_alu instid0(VALU_DEP_4)
	v_add_co_ci_u32_e32 v19, vcc_lo, s49, v19, vcc_lo
	v_cmp_ge_u32_e32 vcc_lo, v13, v1
	s_clause 0x1
	global_load_b64 v[38:39], v[16:17], off
	global_load_b64 v[40:41], v[18:19], off
	s_waitcnt vmcnt(1)
	global_store_b64 v[18:19], v[38:39], off
	s_waitcnt vmcnt(0)
	global_store_b64 v[16:17], v[40:41], off
	s_or_b32 s6, vcc_lo, s6
	s_delay_alu instid0(SALU_CYCLE_1)
	s_and_not1_b32 exec_lo, exec_lo, s6
	s_cbranch_execnz .LBB6_187
.LBB6_188:                              ;   in Loop: Header=BB6_6 Depth=1
	s_or_b32 exec_lo, exec_lo, s5
	v_cmp_gt_u32_e32 vcc_lo, v8, v0
	s_and_b32 exec_lo, exec_lo, vcc_lo
	s_cbranch_execz .LBB6_191
; %bb.189:                              ;   in Loop: Header=BB6_6 Depth=1
	v_add_co_u32 v12, vcc_lo, v30, v15
	v_add_co_ci_u32_e32 v14, vcc_lo, 0, v34, vcc_lo
	v_add_nc_u32_e32 v11, v30, v3
	s_delay_alu instid0(VALU_DEP_3) | instskip(NEXT) | instid1(VALU_DEP_3)
	v_add_co_u32 v13, vcc_lo, v12, v1
	v_add_co_ci_u32_e32 v14, vcc_lo, 0, v14, vcc_lo
	s_delay_alu instid0(VALU_DEP_3) | instskip(SKIP_2) | instid1(VALU_DEP_3)
	v_ashrrev_i32_e32 v12, 31, v11
	v_mov_b32_e32 v15, v0
	s_mov_b32 s5, 0
	v_lshlrev_b64 v[13:14], 3, v[13:14]
	s_mov_b64 s[6:7], s[20:21]
	v_lshlrev_b64 v[11:12], 3, v[11:12]
	s_delay_alu instid0(VALU_DEP_2) | instskip(NEXT) | instid1(VALU_DEP_3)
	v_add_co_u32 v13, vcc_lo, v13, -8
	v_add_co_ci_u32_e32 v14, vcc_lo, -1, v14, vcc_lo
	.p2align	6
.LBB6_190:                              ;   Parent Loop BB6_6 Depth=1
                                        ; =>  This Inner Loop Header: Depth=2
	s_delay_alu instid0(VALU_DEP_3) | instskip(NEXT) | instid1(VALU_DEP_4)
	v_add_co_u32 v16, vcc_lo, s6, v11
	v_add_co_ci_u32_e32 v17, vcc_lo, s7, v12, vcc_lo
	s_delay_alu instid0(VALU_DEP_4) | instskip(NEXT) | instid1(VALU_DEP_4)
	v_add_co_u32 v18, vcc_lo, s6, v13
	v_add_co_ci_u32_e32 v19, vcc_lo, s7, v14, vcc_lo
	v_add_nc_u32_e32 v15, 0x100, v15
	s_clause 0x1
	global_load_b64 v[38:39], v[16:17], off
	global_load_b64 v[40:41], v[18:19], off
	s_add_u32 s6, s6, s38
	s_addc_u32 s7, s7, s39
	v_cmp_ge_u32_e32 vcc_lo, v15, v8
	s_waitcnt vmcnt(1)
	global_store_b64 v[18:19], v[38:39], off
	s_waitcnt vmcnt(0)
	global_store_b64 v[16:17], v[40:41], off
	s_or_b32 s5, vcc_lo, s5
	s_delay_alu instid0(SALU_CYCLE_1)
	s_and_not1_b32 exec_lo, exec_lo, s5
	s_cbranch_execnz .LBB6_190
.LBB6_191:                              ;   in Loop: Header=BB6_6 Depth=1
	s_waitcnt_vscnt null, 0x0
	s_barrier
	buffer_gl0_inv
.LBB6_192:                              ;   in Loop: Header=BB6_6 Depth=1
	s_or_b32 exec_lo, exec_lo, s61
	s_xor_b32 s6, s60, -1
                                        ; implicit-def: $sgpr7
                                        ; implicit-def: $sgpr5
	s_delay_alu instid0(SALU_CYCLE_1) | instskip(NEXT) | instid1(SALU_CYCLE_1)
	s_and_saveexec_b32 s60, s6
	s_xor_b32 s6, exec_lo, s60
	s_cbranch_execz .LBB6_212
; %bb.193:                              ;   in Loop: Header=BB6_6 Depth=1
	v_add_nc_u32_e32 v11, v7, v36
	s_mov_b32 s7, exec_lo
	v_cmpx_gt_i32_e64 s46, v1
	s_cbranch_execz .LBB6_209
; %bb.194:                              ;   in Loop: Header=BB6_6 Depth=1
	v_mul_lo_u32 v8, v36, s18
	v_ashrrev_i32_e32 v12, 31, v11
                                        ; implicit-def: $vgpr19
	s_delay_alu instid0(VALU_DEP_1) | instskip(NEXT) | instid1(VALU_DEP_3)
	v_lshlrev_b64 v[15:16], 3, v[11:12]
	v_add_nc_u32_e32 v13, v8, v36
	s_delay_alu instid0(VALU_DEP_2) | instskip(NEXT) | instid1(VALU_DEP_2)
	v_add_co_u32 v15, vcc_lo, s20, v15
	v_ashrrev_i32_e32 v14, 31, v13
	s_delay_alu instid0(VALU_DEP_4) | instskip(NEXT) | instid1(VALU_DEP_2)
	v_add_co_ci_u32_e32 v16, vcc_lo, s21, v16, vcc_lo
	v_lshlrev_b64 v[17:18], 3, v[13:14]
	global_load_b64 v[12:13], v[15:16], off
	v_add_co_u32 v14, vcc_lo, s20, v17
	v_add_co_ci_u32_e32 v15, vcc_lo, s21, v18, vcc_lo
                                        ; implicit-def: $vgpr18
	global_load_b64 v[14:15], v[14:15], off
	s_waitcnt vmcnt(1)
	v_cmp_gt_f32_e32 vcc_lo, 0, v12
	v_cndmask_b32_e64 v16, v12, -v12, vcc_lo
	v_cmp_gt_f32_e32 vcc_lo, 0, v13
	v_cndmask_b32_e64 v17, v13, -v13, vcc_lo
	s_delay_alu instid0(VALU_DEP_1) | instskip(NEXT) | instid1(VALU_DEP_1)
	v_cmp_ngt_f32_e64 s5, v16, v17
	s_and_saveexec_b32 s60, s5
	s_delay_alu instid0(SALU_CYCLE_1)
	s_xor_b32 s60, exec_lo, s60
	s_cbranch_execz .LBB6_196
; %bb.195:                              ;   in Loop: Header=BB6_6 Depth=1
	v_div_scale_f32 v16, null, v13, v13, v12
	v_div_scale_f32 v19, vcc_lo, v12, v13, v12
	s_delay_alu instid0(VALU_DEP_2) | instskip(SKIP_2) | instid1(VALU_DEP_1)
	v_rcp_f32_e32 v17, v16
	s_waitcnt_depctr 0xfff
	v_fma_f32 v18, -v16, v17, 1.0
	v_fmac_f32_e32 v17, v18, v17
	s_delay_alu instid0(VALU_DEP_1) | instskip(NEXT) | instid1(VALU_DEP_1)
	v_mul_f32_e32 v18, v19, v17
	v_fma_f32 v20, -v16, v18, v19
	s_delay_alu instid0(VALU_DEP_1) | instskip(NEXT) | instid1(VALU_DEP_1)
	v_fmac_f32_e32 v18, v20, v17
	v_fma_f32 v16, -v16, v18, v19
	s_delay_alu instid0(VALU_DEP_1) | instskip(NEXT) | instid1(VALU_DEP_1)
	v_div_fmas_f32 v16, v16, v17, v18
	v_div_fixup_f32 v16, v16, v13, v12
	s_delay_alu instid0(VALU_DEP_1) | instskip(NEXT) | instid1(VALU_DEP_1)
	v_fma_f32 v17, v12, v16, v13
	v_div_scale_f32 v18, null, v17, v17, 1.0
	v_div_scale_f32 v37, vcc_lo, 1.0, v17, 1.0
	s_delay_alu instid0(VALU_DEP_2) | instskip(SKIP_2) | instid1(VALU_DEP_1)
	v_rcp_f32_e32 v19, v18
	s_waitcnt_depctr 0xfff
	v_fma_f32 v20, -v18, v19, 1.0
	v_fmac_f32_e32 v19, v20, v19
	s_delay_alu instid0(VALU_DEP_1) | instskip(NEXT) | instid1(VALU_DEP_1)
	v_mul_f32_e32 v20, v37, v19
	v_fma_f32 v38, -v18, v20, v37
	s_delay_alu instid0(VALU_DEP_1) | instskip(NEXT) | instid1(VALU_DEP_1)
	v_fmac_f32_e32 v20, v38, v19
	v_fma_f32 v18, -v18, v20, v37
	s_delay_alu instid0(VALU_DEP_1) | instskip(SKIP_3) | instid1(VALU_DEP_3)
	v_div_fmas_f32 v18, v18, v19, v20
	s_waitcnt vmcnt(0)
	v_fma_f32 v19, v16, v14, v15
	v_fma_f32 v14, v16, v15, -v14
	v_div_fixup_f32 v17, v18, v17, 1.0
	s_delay_alu instid0(VALU_DEP_1) | instskip(NEXT) | instid1(VALU_DEP_3)
	v_mul_f32_e32 v18, v17, v19
	v_mul_f32_e32 v19, v17, v14
                                        ; implicit-def: $vgpr14_vgpr15
.LBB6_196:                              ;   in Loop: Header=BB6_6 Depth=1
	s_and_not1_saveexec_b32 s60, s60
	s_cbranch_execz .LBB6_198
; %bb.197:                              ;   in Loop: Header=BB6_6 Depth=1
	v_div_scale_f32 v16, null, v12, v12, v13
	v_div_scale_f32 v19, vcc_lo, v13, v12, v13
	s_delay_alu instid0(VALU_DEP_2) | instskip(SKIP_2) | instid1(VALU_DEP_1)
	v_rcp_f32_e32 v17, v16
	s_waitcnt_depctr 0xfff
	v_fma_f32 v18, -v16, v17, 1.0
	v_fmac_f32_e32 v17, v18, v17
	s_delay_alu instid0(VALU_DEP_1) | instskip(NEXT) | instid1(VALU_DEP_1)
	v_mul_f32_e32 v18, v19, v17
	v_fma_f32 v20, -v16, v18, v19
	s_delay_alu instid0(VALU_DEP_1) | instskip(NEXT) | instid1(VALU_DEP_1)
	v_fmac_f32_e32 v18, v20, v17
	v_fma_f32 v16, -v16, v18, v19
	s_delay_alu instid0(VALU_DEP_1) | instskip(NEXT) | instid1(VALU_DEP_1)
	v_div_fmas_f32 v16, v16, v17, v18
	v_div_fixup_f32 v16, v16, v12, v13
	s_delay_alu instid0(VALU_DEP_1) | instskip(NEXT) | instid1(VALU_DEP_1)
	v_fma_f32 v17, v13, v16, v12
	v_div_scale_f32 v18, null, v17, v17, 1.0
	v_div_scale_f32 v37, vcc_lo, 1.0, v17, 1.0
	s_delay_alu instid0(VALU_DEP_2) | instskip(SKIP_2) | instid1(VALU_DEP_1)
	v_rcp_f32_e32 v19, v18
	s_waitcnt_depctr 0xfff
	v_fma_f32 v20, -v18, v19, 1.0
	v_fmac_f32_e32 v19, v20, v19
	s_delay_alu instid0(VALU_DEP_1) | instskip(NEXT) | instid1(VALU_DEP_1)
	v_mul_f32_e32 v20, v37, v19
	v_fma_f32 v38, -v18, v20, v37
	s_delay_alu instid0(VALU_DEP_1) | instskip(NEXT) | instid1(VALU_DEP_1)
	v_fmac_f32_e32 v20, v38, v19
	v_fma_f32 v18, -v18, v20, v37
	s_delay_alu instid0(VALU_DEP_1) | instskip(SKIP_3) | instid1(VALU_DEP_3)
	v_div_fmas_f32 v18, v18, v19, v20
	s_waitcnt vmcnt(0)
	v_fma_f32 v19, v16, v15, v14
	v_fma_f32 v14, -v16, v14, v15
	v_div_fixup_f32 v17, v18, v17, 1.0
	s_delay_alu instid0(VALU_DEP_1) | instskip(NEXT) | instid1(VALU_DEP_3)
	v_mul_f32_e32 v18, v17, v19
	v_mul_f32_e32 v19, v17, v14
.LBB6_198:                              ;   in Loop: Header=BB6_6 Depth=1
	s_or_b32 exec_lo, exec_lo, s60
	global_load_b64 v[14:15], v[5:6], off
                                        ; implicit-def: $vgpr20
                                        ; implicit-def: $vgpr37
	s_and_saveexec_b32 s60, s5
	s_delay_alu instid0(SALU_CYCLE_1)
	s_xor_b32 s5, exec_lo, s60
	s_cbranch_execz .LBB6_200
; %bb.199:                              ;   in Loop: Header=BB6_6 Depth=1
	v_div_scale_f32 v16, null, v13, v13, v12
	v_div_scale_f32 v37, vcc_lo, v12, v13, v12
	s_delay_alu instid0(VALU_DEP_2) | instskip(SKIP_2) | instid1(VALU_DEP_1)
	v_rcp_f32_e32 v17, v16
	s_waitcnt_depctr 0xfff
	v_fma_f32 v20, -v16, v17, 1.0
	v_fmac_f32_e32 v17, v20, v17
	s_delay_alu instid0(VALU_DEP_1) | instskip(NEXT) | instid1(VALU_DEP_1)
	v_mul_f32_e32 v20, v37, v17
	v_fma_f32 v38, -v16, v20, v37
	s_delay_alu instid0(VALU_DEP_1) | instskip(NEXT) | instid1(VALU_DEP_1)
	v_fmac_f32_e32 v20, v38, v17
	v_fma_f32 v16, -v16, v20, v37
	s_delay_alu instid0(VALU_DEP_1) | instskip(NEXT) | instid1(VALU_DEP_1)
	v_div_fmas_f32 v16, v16, v17, v20
	v_div_fixup_f32 v16, v16, v13, v12
	s_delay_alu instid0(VALU_DEP_1) | instskip(NEXT) | instid1(VALU_DEP_1)
	v_fma_f32 v17, v12, v16, v13
	v_div_scale_f32 v20, null, v17, v17, 1.0
	v_div_scale_f32 v39, vcc_lo, 1.0, v17, 1.0
	s_delay_alu instid0(VALU_DEP_2) | instskip(SKIP_2) | instid1(VALU_DEP_1)
	v_rcp_f32_e32 v37, v20
	s_waitcnt_depctr 0xfff
	v_fma_f32 v38, -v20, v37, 1.0
	v_fmac_f32_e32 v37, v38, v37
	s_delay_alu instid0(VALU_DEP_1) | instskip(NEXT) | instid1(VALU_DEP_1)
	v_mul_f32_e32 v38, v39, v37
	v_fma_f32 v40, -v20, v38, v39
	s_delay_alu instid0(VALU_DEP_1) | instskip(NEXT) | instid1(VALU_DEP_1)
	v_fmac_f32_e32 v38, v40, v37
	v_fma_f32 v20, -v20, v38, v39
	s_delay_alu instid0(VALU_DEP_1) | instskip(SKIP_3) | instid1(VALU_DEP_3)
	v_div_fmas_f32 v20, v20, v37, v38
	s_waitcnt vmcnt(0)
	v_fma_f32 v37, v16, v14, v15
	v_fma_f32 v14, v16, v15, -v14
	v_div_fixup_f32 v17, v20, v17, 1.0
	s_delay_alu instid0(VALU_DEP_1) | instskip(NEXT) | instid1(VALU_DEP_3)
	v_mul_f32_e32 v20, v17, v37
	v_mul_f32_e32 v37, v17, v14
                                        ; implicit-def: $vgpr14_vgpr15
.LBB6_200:                              ;   in Loop: Header=BB6_6 Depth=1
	s_and_not1_saveexec_b32 s5, s5
	s_cbranch_execz .LBB6_202
; %bb.201:                              ;   in Loop: Header=BB6_6 Depth=1
	v_div_scale_f32 v16, null, v12, v12, v13
	v_div_scale_f32 v37, vcc_lo, v13, v12, v13
	s_delay_alu instid0(VALU_DEP_2) | instskip(SKIP_2) | instid1(VALU_DEP_1)
	v_rcp_f32_e32 v17, v16
	s_waitcnt_depctr 0xfff
	v_fma_f32 v20, -v16, v17, 1.0
	v_fmac_f32_e32 v17, v20, v17
	s_delay_alu instid0(VALU_DEP_1) | instskip(NEXT) | instid1(VALU_DEP_1)
	v_mul_f32_e32 v20, v37, v17
	v_fma_f32 v38, -v16, v20, v37
	s_delay_alu instid0(VALU_DEP_1) | instskip(NEXT) | instid1(VALU_DEP_1)
	v_fmac_f32_e32 v20, v38, v17
	v_fma_f32 v16, -v16, v20, v37
	s_delay_alu instid0(VALU_DEP_1) | instskip(NEXT) | instid1(VALU_DEP_1)
	v_div_fmas_f32 v16, v16, v17, v20
	v_div_fixup_f32 v16, v16, v12, v13
	s_delay_alu instid0(VALU_DEP_1) | instskip(NEXT) | instid1(VALU_DEP_1)
	v_fma_f32 v17, v13, v16, v12
	v_div_scale_f32 v20, null, v17, v17, 1.0
	v_div_scale_f32 v39, vcc_lo, 1.0, v17, 1.0
	s_delay_alu instid0(VALU_DEP_2) | instskip(SKIP_2) | instid1(VALU_DEP_1)
	v_rcp_f32_e32 v37, v20
	s_waitcnt_depctr 0xfff
	v_fma_f32 v38, -v20, v37, 1.0
	v_fmac_f32_e32 v37, v38, v37
	s_delay_alu instid0(VALU_DEP_1) | instskip(NEXT) | instid1(VALU_DEP_1)
	v_mul_f32_e32 v38, v39, v37
	v_fma_f32 v40, -v20, v38, v39
	s_delay_alu instid0(VALU_DEP_1) | instskip(NEXT) | instid1(VALU_DEP_1)
	v_fmac_f32_e32 v38, v40, v37
	v_fma_f32 v20, -v20, v38, v39
	s_delay_alu instid0(VALU_DEP_1) | instskip(SKIP_3) | instid1(VALU_DEP_3)
	v_div_fmas_f32 v20, v20, v37, v38
	s_waitcnt vmcnt(0)
	v_fma_f32 v37, v16, v15, v14
	v_fma_f32 v14, -v16, v14, v15
	v_div_fixup_f32 v17, v20, v17, 1.0
	s_delay_alu instid0(VALU_DEP_1) | instskip(NEXT) | instid1(VALU_DEP_3)
	v_mul_f32_e32 v20, v17, v37
	v_mul_f32_e32 v37, v17, v14
.LBB6_202:                              ;   in Loop: Header=BB6_6 Depth=1
	s_or_b32 exec_lo, exec_lo, s5
	s_waitcnt vmcnt(0)
	s_delay_alu instid0(VALU_DEP_2) | instskip(SKIP_1) | instid1(VALU_DEP_1)
	v_mul_f32_e32 v15, v19, v20
	s_mov_b32 s5, exec_lo
                                        ; implicit-def: $vgpr38
                                        ; implicit-def: $vgpr39
	v_fmac_f32_e32 v15, v18, v37
	s_delay_alu instid0(VALU_DEP_1) | instskip(NEXT) | instid1(VALU_DEP_1)
	v_dual_mul_f32 v14, v19, v37 :: v_dual_mul_f32 v17, v13, v15
	v_fma_f32 v14, v18, v20, -v14
	s_delay_alu instid0(VALU_DEP_1) | instskip(NEXT) | instid1(VALU_DEP_1)
	v_add_f32_e32 v16, -1.0, v14
	v_mul_f32_e32 v14, v13, v16
	s_delay_alu instid0(VALU_DEP_4) | instskip(NEXT) | instid1(VALU_DEP_2)
	v_fma_f32 v13, v12, v16, -v17
	v_fmac_f32_e32 v14, v12, v15
	s_delay_alu instid0(VALU_DEP_2) | instskip(SKIP_1) | instid1(VALU_DEP_3)
	v_cmp_gt_f32_e32 vcc_lo, 0, v13
	v_cndmask_b32_e64 v12, v13, -v13, vcc_lo
	v_cmp_gt_f32_e32 vcc_lo, 0, v14
	v_cndmask_b32_e64 v15, v14, -v14, vcc_lo
	s_delay_alu instid0(VALU_DEP_1)
	v_cmpx_ngt_f32_e32 v12, v15
	s_xor_b32 s5, exec_lo, s5
	s_cbranch_execz .LBB6_204
; %bb.203:                              ;   in Loop: Header=BB6_6 Depth=1
	v_div_scale_f32 v12, null, v14, v14, v13
	v_div_scale_f32 v17, vcc_lo, v13, v14, v13
	s_delay_alu instid0(VALU_DEP_2) | instskip(SKIP_2) | instid1(VALU_DEP_1)
	v_rcp_f32_e32 v15, v12
	s_waitcnt_depctr 0xfff
	v_fma_f32 v16, -v12, v15, 1.0
	v_fmac_f32_e32 v15, v16, v15
	s_delay_alu instid0(VALU_DEP_1) | instskip(NEXT) | instid1(VALU_DEP_1)
	v_mul_f32_e32 v16, v17, v15
	v_fma_f32 v38, -v12, v16, v17
	s_delay_alu instid0(VALU_DEP_1) | instskip(NEXT) | instid1(VALU_DEP_1)
	v_fmac_f32_e32 v16, v38, v15
	v_fma_f32 v12, -v12, v16, v17
	s_delay_alu instid0(VALU_DEP_1) | instskip(NEXT) | instid1(VALU_DEP_1)
	v_div_fmas_f32 v12, v12, v15, v16
	v_div_fixup_f32 v12, v12, v14, v13
	s_delay_alu instid0(VALU_DEP_1) | instskip(NEXT) | instid1(VALU_DEP_1)
	v_fmac_f32_e32 v14, v13, v12
	v_div_scale_f32 v13, null, v14, v14, 1.0
	v_div_scale_f32 v17, vcc_lo, 1.0, v14, 1.0
	s_delay_alu instid0(VALU_DEP_2) | instskip(SKIP_2) | instid1(VALU_DEP_1)
	v_rcp_f32_e32 v15, v13
	s_waitcnt_depctr 0xfff
	v_fma_f32 v16, -v13, v15, 1.0
	v_fmac_f32_e32 v15, v16, v15
	s_delay_alu instid0(VALU_DEP_1) | instskip(NEXT) | instid1(VALU_DEP_1)
	v_mul_f32_e32 v16, v17, v15
	v_fma_f32 v38, -v13, v16, v17
	s_delay_alu instid0(VALU_DEP_1) | instskip(NEXT) | instid1(VALU_DEP_1)
	v_fmac_f32_e32 v16, v38, v15
	v_fma_f32 v13, -v13, v16, v17
	s_delay_alu instid0(VALU_DEP_1) | instskip(SKIP_2) | instid1(VALU_DEP_3)
	v_div_fmas_f32 v13, v13, v15, v16
	v_add_f32_e32 v15, 0, v12
	v_fma_f32 v12, v12, 0, -1.0
	v_div_fixup_f32 v13, v13, v14, 1.0
                                        ; implicit-def: $vgpr14
	s_delay_alu instid0(VALU_DEP_1) | instskip(NEXT) | instid1(VALU_DEP_4)
	v_mul_f32_e32 v39, v12, v13
	v_mul_f32_e32 v38, v15, v13
                                        ; implicit-def: $vgpr13
.LBB6_204:                              ;   in Loop: Header=BB6_6 Depth=1
	s_and_not1_saveexec_b32 s5, s5
	s_cbranch_execz .LBB6_206
; %bb.205:                              ;   in Loop: Header=BB6_6 Depth=1
	v_div_scale_f32 v12, null, v13, v13, v14
	v_div_scale_f32 v17, vcc_lo, v14, v13, v14
	s_delay_alu instid0(VALU_DEP_2) | instskip(SKIP_2) | instid1(VALU_DEP_1)
	v_rcp_f32_e32 v15, v12
	s_waitcnt_depctr 0xfff
	v_fma_f32 v16, -v12, v15, 1.0
	v_fmac_f32_e32 v15, v16, v15
	s_delay_alu instid0(VALU_DEP_1) | instskip(NEXT) | instid1(VALU_DEP_1)
	v_mul_f32_e32 v16, v17, v15
	v_fma_f32 v38, -v12, v16, v17
	s_delay_alu instid0(VALU_DEP_1) | instskip(NEXT) | instid1(VALU_DEP_1)
	v_fmac_f32_e32 v16, v38, v15
	v_fma_f32 v12, -v12, v16, v17
	s_delay_alu instid0(VALU_DEP_1) | instskip(NEXT) | instid1(VALU_DEP_1)
	v_div_fmas_f32 v12, v12, v15, v16
	v_div_fixup_f32 v12, v12, v13, v14
	s_delay_alu instid0(VALU_DEP_1) | instskip(NEXT) | instid1(VALU_DEP_1)
	v_fmac_f32_e32 v13, v14, v12
	v_div_scale_f32 v14, null, v13, v13, 1.0
	v_div_scale_f32 v17, vcc_lo, 1.0, v13, 1.0
	s_delay_alu instid0(VALU_DEP_2) | instskip(SKIP_2) | instid1(VALU_DEP_1)
	v_rcp_f32_e32 v15, v14
	s_waitcnt_depctr 0xfff
	v_fma_f32 v16, -v14, v15, 1.0
	v_fmac_f32_e32 v15, v16, v15
	s_delay_alu instid0(VALU_DEP_1) | instskip(NEXT) | instid1(VALU_DEP_1)
	v_mul_f32_e32 v16, v17, v15
	v_fma_f32 v38, -v14, v16, v17
	s_delay_alu instid0(VALU_DEP_1) | instskip(NEXT) | instid1(VALU_DEP_1)
	v_fmac_f32_e32 v16, v38, v15
	v_fma_f32 v14, -v14, v16, v17
	s_delay_alu instid0(VALU_DEP_1) | instskip(SKIP_1) | instid1(VALU_DEP_2)
	v_div_fmas_f32 v14, v14, v15, v16
	v_fma_f32 v15, v12, 0, 1.0
	v_div_fixup_f32 v13, v14, v13, 1.0
	s_delay_alu instid0(VALU_DEP_1)
	v_mul_f32_e32 v38, v15, v13
	v_mul_f32_e64 v39, -v12, v13
.LBB6_206:                              ;   in Loop: Header=BB6_6 Depth=1
	s_or_b32 exec_lo, exec_lo, s5
	v_add_nc_u32_e32 v40, v1, v25
	s_delay_alu instid0(VALU_DEP_1)
	v_cmp_gt_i32_e32 vcc_lo, s18, v40
	s_and_b32 exec_lo, exec_lo, vcc_lo
	s_cbranch_execz .LBB6_209
; %bb.207:                              ;   in Loop: Header=BB6_6 Depth=1
	v_mul_lo_u32 v41, s45, v1
	v_add3_u32 v7, v25, v7, v1
	v_add_nc_u32_e32 v12, v40, v8
	s_mov_b32 s60, 0
	s_delay_alu instid0(VALU_DEP_2) | instskip(NEXT) | instid1(VALU_DEP_2)
	v_ashrrev_i32_e32 v8, 31, v7
	v_ashrrev_i32_e32 v13, 31, v12
	v_add_nc_u32_e32 v14, v25, v41
	s_delay_alu instid0(VALU_DEP_3) | instskip(SKIP_1) | instid1(VALU_DEP_3)
	v_lshlrev_b64 v[16:17], 3, v[7:8]
	v_add_nc_u32_e32 v7, v35, v41
	v_ashrrev_i32_e32 v15, 31, v14
	v_lshlrev_b64 v[41:42], 3, v[12:13]
	s_delay_alu instid0(VALU_DEP_4) | instskip(NEXT) | instid1(VALU_DEP_3)
	v_add_co_u32 v12, vcc_lo, s54, v16
	v_lshlrev_b64 v[14:15], 3, v[14:15]
	v_add_co_ci_u32_e32 v13, vcc_lo, s55, v17, vcc_lo
	s_delay_alu instid0(VALU_DEP_2) | instskip(NEXT) | instid1(VALU_DEP_3)
	v_add_co_u32 v14, vcc_lo, s56, v14
	v_add_co_ci_u32_e32 v15, vcc_lo, s57, v15, vcc_lo
	v_add_co_u32 v16, vcc_lo, s54, v41
	v_add_co_ci_u32_e32 v17, vcc_lo, s55, v42, vcc_lo
.LBB6_208:                              ;   Parent Loop BB6_6 Depth=1
                                        ; =>  This Inner Loop Header: Depth=2
	global_load_b64 v[41:42], v[12:13], off offset:-4
	global_load_b64 v[43:44], v[16:17], off offset:-4
	v_add_nc_u32_e32 v40, 0x100, v40
	s_delay_alu instid0(VALU_DEP_1) | instskip(SKIP_4) | instid1(VALU_DEP_2)
	v_cmp_le_i32_e32 vcc_lo, s18, v40
	s_or_b32 s60, vcc_lo, s60
	s_waitcnt vmcnt(1)
	v_mul_f32_e32 v8, v18, v42
	v_mul_f32_e32 v42, v19, v42
	v_fmac_f32_e32 v8, v19, v41
	s_delay_alu instid0(VALU_DEP_2) | instskip(SKIP_1) | instid1(VALU_DEP_1)
	v_fma_f32 v41, v18, v41, -v42
	s_waitcnt vmcnt(0)
	v_dual_sub_f32 v8, v8, v44 :: v_dual_sub_f32 v41, v41, v43
	s_delay_alu instid0(VALU_DEP_1) | instskip(NEXT) | instid1(VALU_DEP_2)
	v_mul_f32_e32 v43, v39, v8
	v_mul_f32_e32 v42, v39, v41
	s_delay_alu instid0(VALU_DEP_2) | instskip(NEXT) | instid1(VALU_DEP_2)
	v_fma_f32 v41, v38, v41, -v43
	v_fmac_f32_e32 v42, v38, v8
	v_ashrrev_i32_e32 v8, 31, v7
	global_store_b64 v[14:15], v[41:42], off offset:-4
	global_load_b64 v[41:42], v[16:17], off offset:-4
	global_load_b64 v[43:44], v[12:13], off offset:-4
	v_lshlrev_b64 v[45:46], 3, v[7:8]
	v_add_nc_u32_e32 v7, 0x100, v7
	s_delay_alu instid0(VALU_DEP_2) | instskip(NEXT) | instid1(VALU_DEP_1)
	v_add_co_u32 v45, s5, s16, v45
	v_add_co_ci_u32_e64 v46, s5, s33, v46, s5
	v_add_co_u32 v14, s5, 0x800, v14
	s_delay_alu instid0(VALU_DEP_1) | instskip(SKIP_1) | instid1(VALU_DEP_1)
	v_add_co_ci_u32_e64 v15, s5, 0, v15, s5
	v_add_co_u32 v12, s5, 0x800, v12
	v_add_co_ci_u32_e64 v13, s5, 0, v13, s5
	v_add_co_u32 v16, s5, 0x800, v16
	s_delay_alu instid0(VALU_DEP_1) | instskip(SKIP_2) | instid1(VALU_DEP_1)
	v_add_co_ci_u32_e64 v17, s5, 0, v17, s5
	s_waitcnt vmcnt(1)
	v_mul_f32_e32 v8, v20, v42
	v_fmac_f32_e32 v8, v37, v41
	s_waitcnt vmcnt(0)
	s_delay_alu instid0(VALU_DEP_1) | instskip(SKIP_1) | instid1(VALU_DEP_1)
	v_sub_f32_e32 v8, v8, v44
	v_mul_f32_e32 v42, v37, v42
	v_fma_f32 v41, v20, v41, -v42
	s_delay_alu instid0(VALU_DEP_1) | instskip(NEXT) | instid1(VALU_DEP_4)
	v_sub_f32_e32 v41, v41, v43
	v_mul_f32_e32 v43, v39, v8
	s_delay_alu instid0(VALU_DEP_2) | instskip(NEXT) | instid1(VALU_DEP_2)
	v_mul_f32_e32 v42, v39, v41
	v_fma_f32 v41, v38, v41, -v43
	s_delay_alu instid0(VALU_DEP_2)
	v_fmac_f32_e32 v42, v38, v8
	global_store_b64 v[45:46], v[41:42], off
	s_and_not1_b32 exec_lo, exec_lo, s60
	s_cbranch_execnz .LBB6_208
.LBB6_209:                              ;   in Loop: Header=BB6_6 Depth=1
	s_or_b32 exec_lo, exec_lo, s7
	s_and_saveexec_b32 s5, s2
	s_cbranch_execz .LBB6_211
; %bb.210:                              ;   in Loop: Header=BB6_6 Depth=1
	global_load_b64 v[5:6], v[5:6], off
	v_mul_lo_u32 v7, v1, s17
	v_ashrrev_i32_e32 v12, 31, v11
	v_add_co_u32 v15, vcc_lo, s16, v9
	v_add_co_ci_u32_e32 v16, vcc_lo, s33, v10, vcc_lo
	s_delay_alu instid0(VALU_DEP_4) | instskip(NEXT) | instid1(VALU_DEP_1)
	v_ashrrev_i32_e32 v8, 31, v7
	v_lshlrev_b64 v[13:14], 3, v[7:8]
	v_lshlrev_b64 v[8:9], 3, v[11:12]
	v_add_nc_u32_e32 v7, v36, v7
	s_delay_alu instid0(VALU_DEP_3) | instskip(NEXT) | instid1(VALU_DEP_4)
	v_add_co_u32 v10, vcc_lo, v15, v13
	v_add_co_ci_u32_e32 v11, vcc_lo, v16, v14, vcc_lo
	s_delay_alu instid0(VALU_DEP_4)
	v_add_co_u32 v8, vcc_lo, s20, v8
	v_add_co_ci_u32_e32 v9, vcc_lo, s21, v9, vcc_lo
	s_waitcnt vmcnt(0)
	global_store_b64 v[10:11], v[5:6], off
	global_load_b64 v[5:6], v[8:9], off
	v_mul_lo_u32 v9, v36, s47
	v_ashrrev_i32_e32 v8, 31, v7
	s_delay_alu instid0(VALU_DEP_1) | instskip(NEXT) | instid1(VALU_DEP_3)
	v_lshlrev_b64 v[7:8], 3, v[7:8]
	v_ashrrev_i32_e32 v10, 31, v9
	s_delay_alu instid0(VALU_DEP_2) | instskip(NEXT) | instid1(VALU_DEP_2)
	v_add_co_u32 v7, vcc_lo, s16, v7
	v_lshlrev_b64 v[9:10], 3, v[9:10]
	s_delay_alu instid0(VALU_DEP_4) | instskip(NEXT) | instid1(VALU_DEP_2)
	v_add_co_ci_u32_e32 v8, vcc_lo, s33, v8, vcc_lo
	v_add_co_u32 v9, vcc_lo, s20, v9
	s_delay_alu instid0(VALU_DEP_3) | instskip(SKIP_4) | instid1(VALU_DEP_1)
	v_add_co_ci_u32_e32 v10, vcc_lo, s21, v10, vcc_lo
	s_waitcnt vmcnt(0)
	global_store_b64 v[7:8], v[5:6], off
	global_load_b64 v[5:6], v[9:10], off
	v_mul_lo_u32 v7, v36, s45
	v_ashrrev_i32_e32 v8, 31, v7
	s_delay_alu instid0(VALU_DEP_1) | instskip(NEXT) | instid1(VALU_DEP_1)
	v_lshlrev_b64 v[7:8], 3, v[7:8]
	v_add_co_u32 v7, vcc_lo, s16, v7
	s_delay_alu instid0(VALU_DEP_2)
	v_add_co_ci_u32_e32 v8, vcc_lo, s33, v8, vcc_lo
	s_waitcnt vmcnt(0)
	global_store_b64 v[7:8], v[5:6], off
.LBB6_211:                              ;   in Loop: Header=BB6_6 Depth=1
	s_or_b32 exec_lo, exec_lo, s5
	s_mov_b32 s5, 0
	s_mov_b32 s7, 2
	s_waitcnt_vscnt null, 0x0
	s_barrier
	buffer_gl0_inv
                                        ; implicit-def: $vgpr5_vgpr6
                                        ; implicit-def: $vgpr37
                                        ; implicit-def: $vgpr7_vgpr8
.LBB6_212:                              ;   in Loop: Header=BB6_6 Depth=1
	s_or_saveexec_b32 s6, s6
	v_mov_b32_e32 v8, s7
	s_xor_b32 exec_lo, exec_lo, s6
	s_cbranch_execz .LBB6_223
; %bb.213:                              ;   in Loop: Header=BB6_6 Depth=1
	global_load_b64 v[8:9], v[5:6], off
	s_waitcnt vmcnt(0)
	v_cmp_gt_f32_e32 vcc_lo, 0, v8
	v_cndmask_b32_e64 v10, v8, -v8, vcc_lo
	v_cmp_gt_f32_e32 vcc_lo, 0, v9
	v_cndmask_b32_e64 v11, v9, -v9, vcc_lo
	s_delay_alu instid0(VALU_DEP_1) | instskip(SKIP_1) | instid1(SALU_CYCLE_1)
	v_cmp_ngt_f32_e32 vcc_lo, v10, v11
                                        ; implicit-def: $vgpr10
                                        ; implicit-def: $vgpr11
	s_and_saveexec_b32 s7, vcc_lo
	s_xor_b32 s7, exec_lo, s7
	s_cbranch_execnz .LBB6_217
; %bb.214:                              ;   in Loop: Header=BB6_6 Depth=1
	s_and_not1_saveexec_b32 s7, s7
	s_cbranch_execnz .LBB6_218
.LBB6_215:                              ;   in Loop: Header=BB6_6 Depth=1
	s_or_b32 exec_lo, exec_lo, s7
	s_and_saveexec_b32 s7, s2
	s_cbranch_execnz .LBB6_219
.LBB6_216:                              ;   in Loop: Header=BB6_6 Depth=1
	s_or_b32 exec_lo, exec_lo, s7
	s_and_saveexec_b32 s7, s4
	s_cbranch_execnz .LBB6_220
	s_branch .LBB6_222
.LBB6_217:                              ;   in Loop: Header=BB6_6 Depth=1
	v_div_scale_f32 v10, null, v9, v9, v8
	v_div_scale_f32 v13, vcc_lo, v8, v9, v8
	s_delay_alu instid0(VALU_DEP_2) | instskip(SKIP_2) | instid1(VALU_DEP_1)
	v_rcp_f32_e32 v11, v10
	s_waitcnt_depctr 0xfff
	v_fma_f32 v12, -v10, v11, 1.0
	v_fmac_f32_e32 v11, v12, v11
	s_delay_alu instid0(VALU_DEP_1) | instskip(NEXT) | instid1(VALU_DEP_1)
	v_mul_f32_e32 v12, v13, v11
	v_fma_f32 v14, -v10, v12, v13
	s_delay_alu instid0(VALU_DEP_1) | instskip(NEXT) | instid1(VALU_DEP_1)
	v_fmac_f32_e32 v12, v14, v11
	v_fma_f32 v10, -v10, v12, v13
	s_delay_alu instid0(VALU_DEP_1) | instskip(NEXT) | instid1(VALU_DEP_1)
	v_div_fmas_f32 v10, v10, v11, v12
	v_div_fixup_f32 v10, v10, v9, v8
	s_delay_alu instid0(VALU_DEP_1) | instskip(NEXT) | instid1(VALU_DEP_1)
	v_fmac_f32_e32 v9, v8, v10
	v_div_scale_f32 v8, null, v9, v9, 1.0
	v_div_scale_f32 v13, vcc_lo, 1.0, v9, 1.0
	s_delay_alu instid0(VALU_DEP_2) | instskip(SKIP_2) | instid1(VALU_DEP_1)
	v_rcp_f32_e32 v11, v8
	s_waitcnt_depctr 0xfff
	v_fma_f32 v12, -v8, v11, 1.0
	v_fmac_f32_e32 v11, v12, v11
	s_delay_alu instid0(VALU_DEP_1) | instskip(NEXT) | instid1(VALU_DEP_1)
	v_mul_f32_e32 v12, v13, v11
	v_fma_f32 v14, -v8, v12, v13
	s_delay_alu instid0(VALU_DEP_1) | instskip(NEXT) | instid1(VALU_DEP_1)
	v_fmac_f32_e32 v12, v14, v11
	v_fma_f32 v8, -v8, v12, v13
	s_delay_alu instid0(VALU_DEP_1) | instskip(SKIP_1) | instid1(VALU_DEP_2)
	v_div_fmas_f32 v8, v8, v11, v12
	v_add_f32_e32 v11, 0, v10
	v_div_fixup_f32 v8, v8, v9, 1.0
	v_fma_f32 v9, v10, 0, -1.0
	s_delay_alu instid0(VALU_DEP_2) | instskip(NEXT) | instid1(VALU_DEP_2)
	v_mul_f32_e32 v10, v11, v8
	v_mul_f32_e32 v11, v9, v8
                                        ; implicit-def: $vgpr8_vgpr9
	s_and_not1_saveexec_b32 s7, s7
	s_cbranch_execz .LBB6_215
.LBB6_218:                              ;   in Loop: Header=BB6_6 Depth=1
	v_div_scale_f32 v10, null, v8, v8, v9
	v_div_scale_f32 v13, vcc_lo, v9, v8, v9
	s_delay_alu instid0(VALU_DEP_2) | instskip(SKIP_2) | instid1(VALU_DEP_1)
	v_rcp_f32_e32 v11, v10
	s_waitcnt_depctr 0xfff
	v_fma_f32 v12, -v10, v11, 1.0
	v_fmac_f32_e32 v11, v12, v11
	s_delay_alu instid0(VALU_DEP_1) | instskip(NEXT) | instid1(VALU_DEP_1)
	v_mul_f32_e32 v12, v13, v11
	v_fma_f32 v14, -v10, v12, v13
	s_delay_alu instid0(VALU_DEP_1) | instskip(NEXT) | instid1(VALU_DEP_1)
	v_fmac_f32_e32 v12, v14, v11
	v_fma_f32 v10, -v10, v12, v13
	s_delay_alu instid0(VALU_DEP_1) | instskip(NEXT) | instid1(VALU_DEP_1)
	v_div_fmas_f32 v10, v10, v11, v12
	v_div_fixup_f32 v11, v10, v8, v9
	s_delay_alu instid0(VALU_DEP_1) | instskip(NEXT) | instid1(VALU_DEP_1)
	v_fmac_f32_e32 v8, v9, v11
	v_div_scale_f32 v9, null, v8, v8, 1.0
	v_div_scale_f32 v13, vcc_lo, 1.0, v8, 1.0
	s_delay_alu instid0(VALU_DEP_2) | instskip(SKIP_2) | instid1(VALU_DEP_1)
	v_rcp_f32_e32 v10, v9
	s_waitcnt_depctr 0xfff
	v_fma_f32 v12, -v9, v10, 1.0
	v_fmac_f32_e32 v10, v12, v10
	s_delay_alu instid0(VALU_DEP_1) | instskip(NEXT) | instid1(VALU_DEP_1)
	v_mul_f32_e32 v12, v13, v10
	v_fma_f32 v14, -v9, v12, v13
	s_delay_alu instid0(VALU_DEP_1) | instskip(NEXT) | instid1(VALU_DEP_1)
	v_fmac_f32_e32 v12, v14, v10
	v_fma_f32 v9, -v9, v12, v13
	s_delay_alu instid0(VALU_DEP_1) | instskip(SKIP_1) | instid1(VALU_DEP_2)
	v_div_fmas_f32 v9, v9, v10, v12
	v_fma_f32 v10, v11, 0, 1.0
	v_div_fixup_f32 v8, v9, v8, 1.0
	s_delay_alu instid0(VALU_DEP_1)
	v_mul_f32_e32 v10, v10, v8
	v_mul_f32_e64 v11, -v11, v8
	s_or_b32 exec_lo, exec_lo, s7
	s_and_saveexec_b32 s7, s2
	s_cbranch_execz .LBB6_216
.LBB6_219:                              ;   in Loop: Header=BB6_6 Depth=1
	global_load_b64 v[5:6], v[5:6], off
	v_mul_lo_u32 v8, v1, s45
	s_delay_alu instid0(VALU_DEP_1) | instskip(NEXT) | instid1(VALU_DEP_1)
	v_ashrrev_i32_e32 v9, 31, v8
	v_lshlrev_b64 v[8:9], 3, v[8:9]
	s_delay_alu instid0(VALU_DEP_1) | instskip(NEXT) | instid1(VALU_DEP_2)
	v_add_co_u32 v8, vcc_lo, s16, v8
	v_add_co_ci_u32_e32 v9, vcc_lo, s33, v9, vcc_lo
	s_waitcnt vmcnt(0)
	global_store_b64 v[8:9], v[5:6], off
	s_or_b32 exec_lo, exec_lo, s7
	s_and_saveexec_b32 s7, s4
	s_cbranch_execz .LBB6_222
.LBB6_220:                              ;   in Loop: Header=BB6_6 Depth=1
	v_mad_u64_u32 v[5:6], null, s45, v1, 1
	v_add3_u32 v6, v7, v1, 1
	v_mov_b32_e32 v7, v0
	s_mov_b32 s60, 0
	.p2align	6
.LBB6_221:                              ;   Parent Loop BB6_6 Depth=1
                                        ; =>  This Inner Loop Header: Depth=2
	s_delay_alu instid0(VALU_DEP_1) | instskip(NEXT) | instid1(VALU_DEP_4)
	v_add_nc_u32_e32 v8, v6, v7
	v_add_nc_u32_e32 v12, v5, v7
	s_delay_alu instid0(VALU_DEP_2) | instskip(NEXT) | instid1(VALU_DEP_2)
	v_ashrrev_i32_e32 v9, 31, v8
	v_ashrrev_i32_e32 v13, 31, v12
	s_delay_alu instid0(VALU_DEP_2) | instskip(NEXT) | instid1(VALU_DEP_2)
	v_lshlrev_b64 v[8:9], 3, v[8:9]
	v_lshlrev_b64 v[12:13], 3, v[12:13]
	s_delay_alu instid0(VALU_DEP_2) | instskip(NEXT) | instid1(VALU_DEP_3)
	v_add_co_u32 v8, vcc_lo, s20, v8
	v_add_co_ci_u32_e32 v9, vcc_lo, s21, v9, vcc_lo
	s_delay_alu instid0(VALU_DEP_3) | instskip(NEXT) | instid1(VALU_DEP_1)
	v_add_co_u32 v15, s4, s16, v12
	v_add_co_ci_u32_e64 v16, s4, s33, v13, s4
	global_load_b64 v[8:9], v[8:9], off
	s_waitcnt vmcnt(0)
	v_dual_mul_f32 v14, v10, v9 :: v_dual_add_nc_u32 v7, 0x100, v7
	v_mul_f32_e32 v17, v11, v9
	s_delay_alu instid0(VALU_DEP_2) | instskip(NEXT) | instid1(VALU_DEP_3)
	v_cmp_ge_i32_e32 vcc_lo, v7, v37
	v_fmac_f32_e32 v14, v11, v8
	s_delay_alu instid0(VALU_DEP_3)
	v_fma_f32 v13, v10, v8, -v17
	s_or_b32 s60, vcc_lo, s60
	global_store_b64 v[15:16], v[13:14], off
	s_and_not1_b32 exec_lo, exec_lo, s60
	s_cbranch_execnz .LBB6_221
.LBB6_222:                              ;   in Loop: Header=BB6_6 Depth=1
	s_or_b32 exec_lo, exec_lo, s7
	v_mov_b32_e32 v8, 1
	s_or_b32 s5, s5, exec_lo
	s_waitcnt_vscnt null, 0x0
	s_barrier
	buffer_gl0_inv
.LBB6_223:                              ;   in Loop: Header=BB6_6 Depth=1
	s_or_b32 exec_lo, exec_lo, s6
	s_branch .LBB6_227
.LBB6_224:                              ;   in Loop: Header=BB6_6 Depth=1
	ds_load_b32 v3, v4 offset:2052
	s_waitcnt lgkmcnt(0)
	v_readfirstlane_b32 s4, v3
	s_delay_alu instid0(VALU_DEP_1) | instskip(SKIP_1) | instid1(SALU_CYCLE_1)
	s_cmp_eq_u32 s4, 0
	s_cselect_b32 s4, -1, 0
	s_and_b32 s5, s2, s4
	s_delay_alu instid0(SALU_CYCLE_1)
	s_and_saveexec_b32 s4, s5
	s_cbranch_execz .LBB6_226
; %bb.225:                              ;   in Loop: Header=BB6_6 Depth=1
	ds_store_b32 v4, v36 offset:2052
.LBB6_226:                              ;   in Loop: Header=BB6_6 Depth=1
	s_or_b32 exec_lo, exec_lo, s4
	v_dual_mov_b32 v8, 1 :: v_dual_mov_b32 v3, v1
	s_mov_b32 s5, -1
.LBB6_227:                              ;   in Loop: Header=BB6_6 Depth=1
	s_and_saveexec_b32 s4, s2
	s_cbranch_execz .LBB6_4
; %bb.228:                              ;   in Loop: Header=BB6_6 Depth=1
	v_lshlrev_b64 v[5:6], 2, v[1:2]
	s_xor_b32 s5, s5, -1
	s_delay_alu instid0(VALU_DEP_1) | instskip(NEXT) | instid1(VALU_DEP_2)
	v_add_co_u32 v5, vcc_lo, s40, v5
	v_add_co_ci_u32_e32 v6, vcc_lo, s41, v6, vcc_lo
	s_and_saveexec_b32 s6, s5
	s_delay_alu instid0(SALU_CYCLE_1)
	s_xor_b32 s5, exec_lo, s6
	s_cbranch_execz .LBB6_230
; %bb.229:                              ;   in Loop: Header=BB6_6 Depth=1
	v_not_b32_e32 v2, v3
	s_delay_alu instid0(VALU_DEP_1)
	v_mov_b32_e32 v3, v2
	global_store_b64 v[5:6], v[2:3], off
                                        ; implicit-def: $vgpr3
                                        ; implicit-def: $vgpr5_vgpr6
.LBB6_230:                              ;   in Loop: Header=BB6_6 Depth=1
	s_and_not1_saveexec_b32 s5, s5
	s_cbranch_execz .LBB6_4
; %bb.231:                              ;   in Loop: Header=BB6_6 Depth=1
	v_add_nc_u32_e32 v2, 1, v3
	global_store_b32 v[5:6], v2, off
	s_branch .LBB6_4
.LBB6_232:
	s_or_b32 exec_lo, exec_lo, s9
	s_and_saveexec_b32 s0, s2
	s_cbranch_execz .LBB6_234
.LBB6_233:
	v_mov_b32_e32 v2, 0
	s_lshl_b64 s[2:3], s[24:25], 2
	s_delay_alu instid0(SALU_CYCLE_1)
	s_add_u32 s4, s12, s2
	s_addc_u32 s5, s13, s3
	ds_load_b32 v3, v2 offset:2052
	s_add_u32 s2, s10, s2
	s_addc_u32 s3, s11, s3
	global_store_b32 v2, v1, s[4:5]
	s_waitcnt lgkmcnt(0)
	global_store_b32 v2, v3, s[2:3]
.LBB6_234:
	s_or_b32 exec_lo, exec_lo, s0
	s_delay_alu instid0(SALU_CYCLE_1)
	s_mov_b32 s8, exec_lo
	v_cmpx_gt_i32_e64 s18, v1
	s_cbranch_execz .LBB6_255
; %bb.235:
	v_ashrrev_i32_e32 v2, 31, v1
	s_add_u32 s0, s22, s30
	s_addc_u32 s4, s23, s31
	s_mov_b32 s2, s19
	s_ashr_i32 s3, s19, 31
	v_lshlrev_b64 v[2:3], 3, v[1:2]
	s_ashr_i32 s1, s18, 31
	s_lshl_b64 s[2:3], s[2:3], 3
	v_cmp_ne_u32_e32 vcc_lo, 0, v1
	s_mov_b32 s9, 0
	v_mov_b32_e32 v8, v1
	v_add_co_u32 v4, s0, s0, v2
	s_delay_alu instid0(VALU_DEP_1) | instskip(SKIP_1) | instid1(SALU_CYCLE_1)
	v_add_co_ci_u32_e64 v5, s0, s4, v3, s0
	s_mov_b32 s0, s18
	s_lshl_b64 s[4:5], s[0:1], 3
	s_add_u32 s0, s26, s28
	s_addc_u32 s1, s27, s29
	v_add_co_u32 v6, s0, s0, v2
	s_delay_alu instid0(VALU_DEP_1) | instskip(SKIP_1) | instid1(VALU_DEP_1)
	v_add_co_ci_u32_e64 v7, s0, s1, v3, s0
	v_add_co_u32 v2, s0, v4, 4
	v_add_co_ci_u32_e64 v3, s0, 0, v5, s0
	s_delay_alu instid0(VALU_DEP_4) | instskip(NEXT) | instid1(VALU_DEP_1)
	v_add_co_u32 v4, s0, v6, v21
	v_add_co_ci_u32_e64 v7, s0, 0, v7, s0
	v_mov_b32_e32 v5, 0
	s_delay_alu instid0(VALU_DEP_3) | instskip(NEXT) | instid1(VALU_DEP_1)
	v_add_co_u32 v6, s0, s14, v4
	v_add_co_ci_u32_e64 v7, s0, s15, v7, s0
	s_ashr_i32 s1, s17, 31
	s_mov_b32 s0, s17
	s_delay_alu instid0(SALU_CYCLE_1)
	s_lshl_b64 s[6:7], s[0:1], 3
	s_branch .LBB6_237
.LBB6_236:                              ;   in Loop: Header=BB6_237 Depth=1
	s_or_b32 exec_lo, exec_lo, s1
	v_add_nc_u32_e32 v8, s19, v8
	v_add_co_u32 v2, s0, v2, s2
	s_delay_alu instid0(VALU_DEP_1) | instskip(NEXT) | instid1(VALU_DEP_3)
	v_add_co_ci_u32_e64 v3, s0, s3, v3, s0
	v_cmp_le_i32_e64 s0, s18, v8
	v_add_co_u32 v6, s1, v6, s2
	s_delay_alu instid0(VALU_DEP_1) | instskip(NEXT) | instid1(VALU_DEP_3)
	v_add_co_ci_u32_e64 v7, s1, s3, v7, s1
	s_or_b32 s9, s0, s9
	s_delay_alu instid0(SALU_CYCLE_1)
	s_and_not1_b32 exec_lo, exec_lo, s9
	s_cbranch_execz .LBB6_255
.LBB6_237:                              ; =>This Loop Header: Depth=1
                                        ;     Child Loop BB6_240 Depth 2
                                        ;       Child Loop BB6_243 Depth 3
                                        ;         Child Loop BB6_245 Depth 4
                                        ;     Child Loop BB6_251 Depth 2
                                        ;       Child Loop BB6_253 Depth 3
	v_sub_nc_u32_e32 v9, s18, v8
	s_mov_b32 s10, exec_lo
	s_delay_alu instid0(VALU_DEP_1) | instskip(NEXT) | instid1(VALU_DEP_1)
	v_min_i32_e32 v23, s19, v9
	v_add_nc_u32_e32 v10, v23, v8
	v_cmpx_lt_i32_e32 0, v23
	s_cbranch_execz .LBB6_247
; %bb.238:                              ;   in Loop: Header=BB6_237 Depth=1
	v_dual_mov_b32 v12, v7 :: v_dual_mov_b32 v11, v6
	v_dual_mov_b32 v14, v3 :: v_dual_mov_b32 v13, v2
	v_mov_b32_e32 v15, v8
	s_mov_b32 s11, 0
	s_branch .LBB6_240
.LBB6_239:                              ;   in Loop: Header=BB6_240 Depth=2
	s_or_b32 exec_lo, exec_lo, s12
	v_add_nc_u32_e32 v15, 1, v15
	v_add_co_u32 v13, s0, v13, 8
	s_delay_alu instid0(VALU_DEP_1) | instskip(NEXT) | instid1(VALU_DEP_3)
	v_add_co_ci_u32_e64 v14, s0, 0, v14, s0
	v_cmp_ge_i32_e64 s0, v15, v10
	v_add_co_u32 v11, s1, v11, 8
	s_delay_alu instid0(VALU_DEP_1) | instskip(NEXT) | instid1(VALU_DEP_3)
	v_add_co_ci_u32_e64 v12, s1, 0, v12, s1
	s_or_b32 s11, s0, s11
	s_delay_alu instid0(SALU_CYCLE_1)
	s_and_not1_b32 exec_lo, exec_lo, s11
	s_cbranch_execz .LBB6_247
.LBB6_240:                              ;   Parent Loop BB6_237 Depth=1
                                        ; =>  This Loop Header: Depth=2
                                        ;       Child Loop BB6_243 Depth 3
                                        ;         Child Loop BB6_245 Depth 4
	s_delay_alu instid0(VALU_DEP_1) | instskip(SKIP_1) | instid1(VALU_DEP_1)
	v_sub_nc_u32_e32 v24, v10, v15
	s_mov_b32 s12, exec_lo
	v_cmpx_gt_i32_e64 v24, v0
	s_cbranch_execz .LBB6_239
; %bb.241:                              ;   in Loop: Header=BB6_240 Depth=2
	v_mul_lo_u32 v17, v15, s17
	v_ashrrev_i32_e32 v16, 31, v15
	s_mov_b32 s13, 0
	s_delay_alu instid0(VALU_DEP_1) | instskip(NEXT) | instid1(VALU_DEP_3)
	v_lshlrev_b64 v[19:20], 3, v[15:16]
	v_ashrrev_i32_e32 v18, 31, v17
	s_delay_alu instid0(VALU_DEP_2) | instskip(NEXT) | instid1(VALU_DEP_2)
	v_add_co_u32 v4, s0, s16, v19
	v_lshlrev_b64 v[25:26], 3, v[17:18]
	s_delay_alu instid0(VALU_DEP_4) | instskip(SKIP_1) | instid1(VALU_DEP_3)
	v_add_co_ci_u32_e64 v18, s0, s33, v20, s0
	v_dual_mov_b32 v17, v12 :: v_dual_mov_b32 v16, v11
	v_add_co_u32 v25, s0, v4, v25
	s_delay_alu instid0(VALU_DEP_1)
	v_add_co_ci_u32_e64 v26, s0, v18, v26, s0
	v_mov_b32_e32 v4, v0
	s_branch .LBB6_243
.LBB6_242:                              ;   in Loop: Header=BB6_243 Depth=3
	s_or_b32 exec_lo, exec_lo, s14
	v_lshlrev_b64 v[18:19], 3, v[4:5]
	v_fma_f32 v29, 0x80000000, v27, -v28
	v_fma_f32 v27, v28, 0, -v27
	v_add_co_u32 v16, s1, 0x800, v16
	s_delay_alu instid0(VALU_DEP_1) | instskip(SKIP_1) | instid1(VALU_DEP_1)
	v_add_co_ci_u32_e64 v17, s1, 0, v17, s1
	v_add_co_u32 v18, s0, v25, v18
	v_add_co_ci_u32_e64 v19, s0, v26, v19, s0
	global_load_b64 v[20:21], v[18:19], off
	s_waitcnt vmcnt(0)
	v_dual_fmamk_f32 v28, v21, 0x80000000, v20 :: v_dual_fmac_f32 v21, 0, v20
	v_add_nc_u32_e32 v4, 0x100, v4
	s_delay_alu instid0(VALU_DEP_2) | instskip(NEXT) | instid1(VALU_DEP_2)
	v_dual_add_f32 v20, v29, v28 :: v_dual_add_f32 v21, v27, v21
	v_cmp_ge_i32_e64 s0, v4, v24
	global_store_b64 v[18:19], v[20:21], off
	s_or_b32 s13, s0, s13
	s_delay_alu instid0(SALU_CYCLE_1)
	s_and_not1_b32 exec_lo, exec_lo, s13
	s_cbranch_execz .LBB6_239
.LBB6_243:                              ;   Parent Loop BB6_237 Depth=1
                                        ;     Parent Loop BB6_240 Depth=2
                                        ; =>    This Loop Header: Depth=3
                                        ;         Child Loop BB6_245 Depth 4
	v_dual_mov_b32 v27, 0 :: v_dual_mov_b32 v28, 0
	s_and_saveexec_b32 s14, vcc_lo
	s_cbranch_execz .LBB6_242
; %bb.244:                              ;   in Loop: Header=BB6_243 Depth=3
	v_dual_mov_b32 v19, v17 :: v_dual_mov_b32 v28, 0
	v_dual_mov_b32 v27, 0 :: v_dual_mov_b32 v18, v16
	;; [unrolled: 1-line block ×3, first 2 shown]
	v_mov_b32_e32 v29, v1
	s_mov_b32 s15, 0
	.p2align	6
.LBB6_245:                              ;   Parent Loop BB6_237 Depth=1
                                        ;     Parent Loop BB6_240 Depth=2
                                        ;       Parent Loop BB6_243 Depth=3
                                        ; =>      This Inner Loop Header: Depth=4
	global_load_b64 v[30:31], v[18:19], off
	global_load_b64 v[32:33], v[20:21], off offset:-4
	v_add_nc_u32_e32 v29, -1, v29
	v_add_co_u32 v20, s0, v20, s4
	s_delay_alu instid0(VALU_DEP_1) | instskip(SKIP_1) | instid1(VALU_DEP_1)
	v_add_co_ci_u32_e64 v21, s0, s5, v21, s0
	v_add_co_u32 v18, s0, v18, s6
	v_add_co_ci_u32_e64 v19, s0, s7, v19, s0
	s_waitcnt vmcnt(0)
	v_mul_f32_e32 v34, v33, v31
	v_mul_f32_e32 v31, v32, v31
	v_cmp_eq_u32_e64 s1, 0, v29
	s_delay_alu instid0(VALU_DEP_3) | instskip(NEXT) | instid1(VALU_DEP_3)
	v_fma_f32 v32, v32, v30, -v34
	v_fmac_f32_e32 v31, v33, v30
	s_delay_alu instid0(VALU_DEP_3) | instskip(NEXT) | instid1(VALU_DEP_1)
	s_or_b32 s15, s1, s15
	v_dual_add_f32 v28, v28, v32 :: v_dual_add_f32 v27, v27, v31
	s_and_not1_b32 exec_lo, exec_lo, s15
	s_cbranch_execnz .LBB6_245
; %bb.246:                              ;   in Loop: Header=BB6_243 Depth=3
	s_or_b32 exec_lo, exec_lo, s15
	s_branch .LBB6_242
.LBB6_247:                              ;   in Loop: Header=BB6_237 Depth=1
	s_or_b32 exec_lo, exec_lo, s10
	s_delay_alu instid0(SALU_CYCLE_1)
	s_mov_b32 s1, exec_lo
	v_cmpx_gt_i32_e64 s18, v10
	s_cbranch_execz .LBB6_236
; %bb.248:                              ;   in Loop: Header=BB6_237 Depth=1
	v_sub_nc_u32_e32 v13, v9, v23
	s_delay_alu instid0(VALU_DEP_1) | instskip(NEXT) | instid1(VALU_DEP_1)
	v_mul_lo_u32 v14, v13, v23
	v_cmp_gt_i32_e64 s0, v14, v0
	s_delay_alu instid0(VALU_DEP_1)
	s_and_b32 exec_lo, exec_lo, s0
	s_cbranch_execz .LBB6_236
; %bb.249:                              ;   in Loop: Header=BB6_237 Depth=1
	v_sub_nc_u32_e32 v4, 0, v13
	v_ashrrev_i32_e32 v11, 31, v10
	v_mul_lo_u32 v19, v8, s17
	v_ashrrev_i32_e32 v9, 31, v8
	v_ashrrev_i32_e32 v16, 31, v13
	v_max_i32_e32 v15, v13, v4
	v_lshlrev_b64 v[10:11], 3, v[10:11]
	s_mov_b32 s10, 0
	v_lshlrev_b64 v[23:24], 3, v[8:9]
	v_mov_b32_e32 v25, v0
	v_cvt_f32_u32_e32 v4, v15
	v_sub_nc_u32_e32 v12, 0, v15
	v_ashrrev_i32_e32 v20, 31, v19
	v_add_co_u32 v17, s0, s16, v10
	s_delay_alu instid0(VALU_DEP_4) | instskip(SKIP_1) | instid1(VALU_DEP_3)
	v_rcp_iflag_f32_e32 v4, v4
	v_add_co_ci_u32_e64 v18, s0, s33, v11, s0
	v_lshlrev_b64 v[9:10], 3, v[19:20]
	v_add_co_u32 v19, s0, s20, v23
	s_delay_alu instid0(VALU_DEP_1) | instskip(NEXT) | instid1(VALU_DEP_3)
	v_add_co_ci_u32_e64 v20, s0, s21, v24, s0
	v_add_co_u32 v21, s0, v17, v9
	s_waitcnt_depctr 0xfff
	v_mul_f32_e32 v4, 0x4f7ffffe, v4
	v_add_co_ci_u32_e64 v23, s0, v18, v10, s0
	s_delay_alu instid0(VALU_DEP_2) | instskip(NEXT) | instid1(VALU_DEP_1)
	v_cvt_u32_f32_e32 v4, v4
	v_mul_lo_u32 v12, v12, v4
	s_delay_alu instid0(VALU_DEP_1) | instskip(NEXT) | instid1(VALU_DEP_1)
	v_mul_hi_u32 v11, v4, v12
	v_add_nc_u32_e32 v24, v4, v11
	s_branch .LBB6_251
.LBB6_250:                              ;   in Loop: Header=BB6_251 Depth=2
	s_or_b32 exec_lo, exec_lo, s11
	s_delay_alu instid0(VALU_DEP_1) | instskip(SKIP_2) | instid1(VALU_DEP_3)
	v_mad_u64_u32 v[9:10], null, v27, s17, v[4:5]
	v_fma_f32 v4, 0x80000000, v26, -v28
	v_fma_f32 v26, v28, 0, -v26
	v_ashrrev_i32_e32 v10, 31, v9
	s_delay_alu instid0(VALU_DEP_1) | instskip(NEXT) | instid1(VALU_DEP_1)
	v_lshlrev_b64 v[9:10], 3, v[9:10]
	v_add_co_u32 v9, s0, v21, v9
	s_delay_alu instid0(VALU_DEP_1) | instskip(SKIP_4) | instid1(VALU_DEP_2)
	v_add_co_ci_u32_e64 v10, s0, v23, v10, s0
	global_load_b64 v[11:12], v[9:10], off
	v_add_nc_u32_e32 v25, 0x100, v25
	s_waitcnt vmcnt(0)
	v_dual_fmamk_f32 v27, v12, 0x80000000, v11 :: v_dual_fmac_f32 v12, 0, v11
	v_cmp_ge_i32_e64 s0, v25, v14
	s_delay_alu instid0(VALU_DEP_2) | instskip(NEXT) | instid1(VALU_DEP_2)
	v_dual_add_f32 v12, v26, v12 :: v_dual_add_f32 v11, v4, v27
	s_or_b32 s10, s0, s10
	global_store_b64 v[9:10], v[11:12], off
	s_and_not1_b32 exec_lo, exec_lo, s10
	s_cbranch_execz .LBB6_236
.LBB6_251:                              ;   Parent Loop BB6_237 Depth=1
                                        ; =>  This Loop Header: Depth=2
                                        ;       Child Loop BB6_253 Depth 3
	s_delay_alu instid0(VALU_DEP_1) | instskip(SKIP_2) | instid1(VALU_DEP_3)
	v_mul_hi_u32 v4, v25, v24
	v_mov_b32_e32 v26, 0
	v_mov_b32_e32 v28, 0
	v_mul_lo_u32 v9, v4, v15
	v_add_nc_u32_e32 v10, 1, v4
	s_delay_alu instid0(VALU_DEP_2) | instskip(NEXT) | instid1(VALU_DEP_1)
	v_sub_nc_u32_e32 v9, v25, v9
	v_sub_nc_u32_e32 v11, v9, v15
	v_cmp_ge_u32_e64 s0, v9, v15
	s_delay_alu instid0(VALU_DEP_1) | instskip(NEXT) | instid1(VALU_DEP_3)
	v_cndmask_b32_e64 v4, v4, v10, s0
	v_cndmask_b32_e64 v9, v9, v11, s0
	s_delay_alu instid0(VALU_DEP_2) | instskip(NEXT) | instid1(VALU_DEP_2)
	v_add_nc_u32_e32 v10, 1, v4
	v_cmp_ge_u32_e64 s0, v9, v15
	s_delay_alu instid0(VALU_DEP_1) | instskip(NEXT) | instid1(VALU_DEP_1)
	v_cndmask_b32_e64 v4, v4, v10, s0
	v_xor_b32_e32 v4, v4, v16
	s_delay_alu instid0(VALU_DEP_1) | instskip(NEXT) | instid1(VALU_DEP_1)
	v_sub_nc_u32_e32 v27, v4, v16
	v_mul_lo_u32 v4, v27, v13
	s_delay_alu instid0(VALU_DEP_1)
	v_sub_nc_u32_e32 v4, v25, v4
	s_and_saveexec_b32 s11, vcc_lo
	s_cbranch_execz .LBB6_250
; %bb.252:                              ;   in Loop: Header=BB6_251 Depth=2
	s_delay_alu instid0(VALU_DEP_1)
	v_dual_mov_b32 v26, 0 :: v_dual_mov_b32 v9, v4
	v_dual_mov_b32 v11, v27 :: v_dual_mov_b32 v28, 0
	v_mov_b32_e32 v29, v1
	s_mov_b32 s12, 0
	s_set_inst_prefetch_distance 0x1
	.p2align	6
.LBB6_253:                              ;   Parent Loop BB6_237 Depth=1
                                        ;     Parent Loop BB6_251 Depth=2
                                        ; =>    This Inner Loop Header: Depth=3
	v_ashrrev_i32_e32 v10, 31, v9
	v_ashrrev_i32_e32 v12, 31, v11
	v_add_nc_u32_e32 v29, -1, v29
	s_delay_alu instid0(VALU_DEP_3) | instskip(NEXT) | instid1(VALU_DEP_3)
	v_lshlrev_b64 v[30:31], 3, v[9:10]
	v_lshlrev_b64 v[32:33], 3, v[11:12]
	v_add_nc_u32_e32 v9, s17, v9
	v_add_nc_u32_e32 v11, s18, v11
	s_delay_alu instid0(VALU_DEP_4) | instskip(NEXT) | instid1(VALU_DEP_1)
	v_add_co_u32 v30, s0, v17, v30
	v_add_co_ci_u32_e64 v31, s0, v18, v31, s0
	v_add_co_u32 v32, s0, v19, v32
	s_delay_alu instid0(VALU_DEP_1) | instskip(SKIP_3) | instid1(VALU_DEP_1)
	v_add_co_ci_u32_e64 v33, s0, v20, v33, s0
	global_load_b64 v[30:31], v[30:31], off
	global_load_b64 v[32:33], v[32:33], off
	v_cmp_eq_u32_e64 s0, 0, v29
	s_or_b32 s12, s0, s12
	s_waitcnt vmcnt(0)
	v_mul_f32_e32 v10, v33, v31
	v_mul_f32_e32 v12, v32, v31
	s_delay_alu instid0(VALU_DEP_2) | instskip(NEXT) | instid1(VALU_DEP_2)
	v_fma_f32 v10, v32, v30, -v10
	v_fmac_f32_e32 v12, v33, v30
	s_delay_alu instid0(VALU_DEP_2) | instskip(NEXT) | instid1(VALU_DEP_2)
	v_add_f32_e32 v28, v28, v10
	v_add_f32_e32 v26, v26, v12
	s_and_not1_b32 exec_lo, exec_lo, s12
	s_cbranch_execnz .LBB6_253
; %bb.254:                              ;   in Loop: Header=BB6_251 Depth=2
	s_set_inst_prefetch_distance 0x2
	s_or_b32 exec_lo, exec_lo, s12
	s_branch .LBB6_250
.LBB6_255:
	s_or_b32 exec_lo, exec_lo, s8
	s_waitcnt lgkmcnt(0)
	s_waitcnt_vscnt null, 0x0
	s_barrier
	buffer_gl0_inv
	s_mov_b32 s0, exec_lo
	v_cmpx_lt_i32_e32 1, v1
	s_cbranch_execz .LBB6_263
; %bb.256:
	v_mov_b32_e32 v3, 0
	s_add_u32 s1, s16, -8
	s_addc_u32 s2, s33, -1
	s_lshl_b32 s3, s17, 8
	s_mov_b32 s4, 0
	s_branch .LBB6_259
.LBB6_257:                              ;   in Loop: Header=BB6_259 Depth=1
	s_waitcnt_vscnt null, 0x0
	s_barrier
	buffer_gl0_inv
.LBB6_258:                              ;   in Loop: Header=BB6_259 Depth=1
	s_or_b32 exec_lo, exec_lo, s0
	v_cmp_gt_i32_e32 vcc_lo, 2, v4
	v_mov_b32_e32 v1, v4
	s_or_b32 s4, vcc_lo, s4
	s_delay_alu instid0(SALU_CYCLE_1)
	s_and_not1_b32 exec_lo, exec_lo, s4
	s_cbranch_execz .LBB6_263
.LBB6_259:                              ; =>This Loop Header: Depth=1
                                        ;     Child Loop BB6_262 Depth 2
	s_delay_alu instid0(VALU_DEP_1) | instskip(SKIP_1) | instid1(VALU_DEP_2)
	v_add_nc_u32_e32 v2, -1, v1
	v_add_nc_u32_e32 v6, -2, v1
	v_lshlrev_b64 v[4:5], 2, v[2:3]
	s_delay_alu instid0(VALU_DEP_1) | instskip(NEXT) | instid1(VALU_DEP_2)
	v_add_co_u32 v4, vcc_lo, s40, v4
	v_add_co_ci_u32_e32 v5, vcc_lo, s41, v5, vcc_lo
	global_load_b32 v4, v[4:5], off
	s_waitcnt vmcnt(0)
	v_not_b32_e32 v5, v4
	v_cmp_gt_i32_e32 vcc_lo, 0, v4
	v_dual_cndmask_b32 v4, v2, v6 :: v_dual_add_nc_u32 v7, -1, v4
	s_delay_alu instid0(VALU_DEP_1) | instskip(NEXT) | instid1(VALU_DEP_2)
	v_cndmask_b32_e32 v5, v7, v5, vcc_lo
	v_cmp_ne_u32_e64 s0, 0, v4
	s_delay_alu instid0(VALU_DEP_2) | instskip(NEXT) | instid1(VALU_DEP_2)
	v_cmp_ne_u32_e32 vcc_lo, v5, v2
	s_and_b32 s5, vcc_lo, s0
	s_delay_alu instid0(SALU_CYCLE_1)
	s_and_saveexec_b32 s0, s5
	s_cbranch_execz .LBB6_258
; %bb.260:                              ;   in Loop: Header=BB6_259 Depth=1
	v_cmp_gt_i32_e32 vcc_lo, v4, v0
	s_and_b32 exec_lo, exec_lo, vcc_lo
	s_cbranch_execz .LBB6_257
; %bb.261:                              ;   in Loop: Header=BB6_259 Depth=1
	v_ashrrev_i32_e32 v2, 31, v1
	v_dual_mov_b32 v6, v22 :: v_dual_mov_b32 v7, v0
	s_mov_b32 s5, 0
	.p2align	6
.LBB6_262:                              ;   Parent Loop BB6_259 Depth=1
                                        ; =>  This Inner Loop Header: Depth=2
	s_delay_alu instid0(VALU_DEP_1) | instskip(SKIP_3) | instid1(VALU_DEP_4)
	v_ashrrev_i32_e32 v9, 31, v6
	v_add_nc_u32_e32 v8, v5, v6
	v_add_co_u32 v10, vcc_lo, v6, v1
	v_add_nc_u32_e32 v7, 0x100, v7
	v_add_co_ci_u32_e32 v11, vcc_lo, v9, v2, vcc_lo
	s_delay_alu instid0(VALU_DEP_4) | instskip(SKIP_1) | instid1(VALU_DEP_3)
	v_ashrrev_i32_e32 v9, 31, v8
	v_add_nc_u32_e32 v6, s3, v6
	v_lshlrev_b64 v[10:11], 3, v[10:11]
	s_delay_alu instid0(VALU_DEP_3) | instskip(NEXT) | instid1(VALU_DEP_2)
	v_lshlrev_b64 v[8:9], 3, v[8:9]
	v_add_co_u32 v10, vcc_lo, s1, v10
	s_delay_alu instid0(VALU_DEP_3) | instskip(NEXT) | instid1(VALU_DEP_3)
	v_add_co_ci_u32_e32 v11, vcc_lo, s2, v11, vcc_lo
	v_add_co_u32 v8, vcc_lo, s16, v8
	s_delay_alu instid0(VALU_DEP_4)
	v_add_co_ci_u32_e32 v9, vcc_lo, s33, v9, vcc_lo
	v_cmp_ge_i32_e32 vcc_lo, v7, v4
	s_clause 0x1
	global_load_b64 v[12:13], v[10:11], off
	global_load_b64 v[14:15], v[8:9], off
	s_waitcnt vmcnt(1)
	global_store_b64 v[8:9], v[12:13], off
	s_waitcnt vmcnt(0)
	global_store_b64 v[10:11], v[14:15], off
	s_or_b32 s5, vcc_lo, s5
	s_delay_alu instid0(SALU_CYCLE_1)
	s_and_not1_b32 exec_lo, exec_lo, s5
	s_cbranch_execnz .LBB6_262
	s_branch .LBB6_257
.LBB6_263:
	s_endpgm
.LBB6_264:
	v_mov_b32_e32 v1, 0
	s_and_saveexec_b32 s0, s2
	s_cbranch_execnz .LBB6_233
	s_branch .LBB6_234
	.section	.rodata,"a",@progbits
	.p2align	6, 0x0
	.amdhsa_kernel _ZN9rocsolver6v33100L18lasyf_kernel_lowerI19rocblas_complex_numIfEPS3_EEviiPiT0_iilS5_lS5_PT_
		.amdhsa_group_segment_fixed_size 2068
		.amdhsa_private_segment_fixed_size 0
		.amdhsa_kernarg_size 72
		.amdhsa_user_sgpr_count 14
		.amdhsa_user_sgpr_dispatch_ptr 0
		.amdhsa_user_sgpr_queue_ptr 0
		.amdhsa_user_sgpr_kernarg_segment_ptr 1
		.amdhsa_user_sgpr_dispatch_id 0
		.amdhsa_user_sgpr_private_segment_size 0
		.amdhsa_wavefront_size32 1
		.amdhsa_uses_dynamic_stack 0
		.amdhsa_enable_private_segment 0
		.amdhsa_system_sgpr_workgroup_id_x 1
		.amdhsa_system_sgpr_workgroup_id_y 1
		.amdhsa_system_sgpr_workgroup_id_z 0
		.amdhsa_system_sgpr_workgroup_info 0
		.amdhsa_system_vgpr_workitem_id 0
		.amdhsa_next_free_vgpr 48
		.amdhsa_next_free_sgpr 64
		.amdhsa_reserve_vcc 1
		.amdhsa_float_round_mode_32 0
		.amdhsa_float_round_mode_16_64 0
		.amdhsa_float_denorm_mode_32 3
		.amdhsa_float_denorm_mode_16_64 3
		.amdhsa_dx10_clamp 1
		.amdhsa_ieee_mode 1
		.amdhsa_fp16_overflow 0
		.amdhsa_workgroup_processor_mode 1
		.amdhsa_memory_ordered 1
		.amdhsa_forward_progress 0
		.amdhsa_shared_vgpr_count 0
		.amdhsa_exception_fp_ieee_invalid_op 0
		.amdhsa_exception_fp_denorm_src 0
		.amdhsa_exception_fp_ieee_div_zero 0
		.amdhsa_exception_fp_ieee_overflow 0
		.amdhsa_exception_fp_ieee_underflow 0
		.amdhsa_exception_fp_ieee_inexact 0
		.amdhsa_exception_int_div_zero 0
	.end_amdhsa_kernel
	.section	.text._ZN9rocsolver6v33100L18lasyf_kernel_lowerI19rocblas_complex_numIfEPS3_EEviiPiT0_iilS5_lS5_PT_,"axG",@progbits,_ZN9rocsolver6v33100L18lasyf_kernel_lowerI19rocblas_complex_numIfEPS3_EEviiPiT0_iilS5_lS5_PT_,comdat
.Lfunc_end6:
	.size	_ZN9rocsolver6v33100L18lasyf_kernel_lowerI19rocblas_complex_numIfEPS3_EEviiPiT0_iilS5_lS5_PT_, .Lfunc_end6-_ZN9rocsolver6v33100L18lasyf_kernel_lowerI19rocblas_complex_numIfEPS3_EEviiPiT0_iilS5_lS5_PT_
                                        ; -- End function
	.section	.AMDGPU.csdata,"",@progbits
; Kernel info:
; codeLenInByte = 13564
; NumSgprs: 66
; NumVgprs: 48
; ScratchSize: 0
; MemoryBound: 0
; FloatMode: 240
; IeeeMode: 1
; LDSByteSize: 2068 bytes/workgroup (compile time only)
; SGPRBlocks: 8
; VGPRBlocks: 5
; NumSGPRsForWavesPerEU: 66
; NumVGPRsForWavesPerEU: 48
; Occupancy: 16
; WaveLimiterHint : 1
; COMPUTE_PGM_RSRC2:SCRATCH_EN: 0
; COMPUTE_PGM_RSRC2:USER_SGPR: 14
; COMPUTE_PGM_RSRC2:TRAP_HANDLER: 0
; COMPUTE_PGM_RSRC2:TGID_X_EN: 1
; COMPUTE_PGM_RSRC2:TGID_Y_EN: 1
; COMPUTE_PGM_RSRC2:TGID_Z_EN: 0
; COMPUTE_PGM_RSRC2:TIDIG_COMP_CNT: 0
	.section	.text._ZN9rocsolver6v33100L18lasyf_kernel_upperI19rocblas_complex_numIdEPS3_EEviiPiT0_iilS5_lS5_PT_,"axG",@progbits,_ZN9rocsolver6v33100L18lasyf_kernel_upperI19rocblas_complex_numIdEPS3_EEviiPiT0_iilS5_lS5_PT_,comdat
	.globl	_ZN9rocsolver6v33100L18lasyf_kernel_upperI19rocblas_complex_numIdEPS3_EEviiPiT0_iilS5_lS5_PT_ ; -- Begin function _ZN9rocsolver6v33100L18lasyf_kernel_upperI19rocblas_complex_numIdEPS3_EEviiPiT0_iilS5_lS5_PT_
	.p2align	8
	.type	_ZN9rocsolver6v33100L18lasyf_kernel_upperI19rocblas_complex_numIdEPS3_EEviiPiT0_iilS5_lS5_PT_,@function
_ZN9rocsolver6v33100L18lasyf_kernel_upperI19rocblas_complex_numIdEPS3_EEviiPiT0_iilS5_lS5_PT_: ; @_ZN9rocsolver6v33100L18lasyf_kernel_upperI19rocblas_complex_numIdEPS3_EEviiPiT0_iilS5_lS5_PT_
; %bb.0:
	v_and_b32_e32 v8, 0x3ff, v0
	s_mov_b32 s26, s15
	s_delay_alu instid0(VALU_DEP_1) | instskip(NEXT) | instid1(VALU_DEP_1)
	v_cmp_eq_u32_e64 s4, 0, v8
	s_and_saveexec_b32 s5, s4
	s_cbranch_execz .LBB7_2
; %bb.1:
	v_mov_b32_e32 v1, 0
	ds_store_b32 v1, v1 offset:3100
.LBB7_2:
	s_or_b32 exec_lo, exec_lo, s5
	s_load_b64 s[0:1], s[0:1], 0x4
	s_clause 0x4
	s_load_b64 s[20:21], s[2:3], 0x18
	s_load_b256 s[8:15], s[2:3], 0x20
	s_load_b64 s[22:23], s[2:3], 0x0
	s_load_b128 s[16:19], s[2:3], 0x8
	s_load_b64 s[24:25], s[2:3], 0x40
	s_ashr_i32 s27, s26, 31
	v_bfe_u32 v1, v0, 10, 10
	v_bfe_u32 v0, v0, 20, 10
	v_lshlrev_b32_e32 v23, 4, v8
	v_add_nc_u32_e32 v21, 1, v8
	s_waitcnt lgkmcnt(0)
	s_lshr_b32 s0, s0, 16
	s_ashr_i32 s3, s20, 31
	s_mul_i32 s5, s26, s9
	s_mul_hi_u32 s7, s26, s8
	s_mul_i32 s9, s27, s8
	s_add_i32 s5, s7, s5
	s_mul_i32 s6, s26, s8
	s_add_i32 s7, s5, s9
	s_mov_b32 s2, s20
	s_lshl_b64 s[28:29], s[6:7], 4
	s_mul_i32 s8, s26, s22
	s_add_u32 s6, s18, s28
	s_addc_u32 s9, s19, s29
	s_lshl_b64 s[30:31], s[2:3], 4
	s_mul_i32 s2, s8, s23
	s_add_u32 s20, s6, s30
	s_addc_u32 s33, s9, s31
	s_ashr_i32 s3, s2, 31
	s_mul_i32 s0, s0, s1
	s_lshl_b64 s[8:9], s[2:3], 4
	s_mul_i32 s13, s26, s13
	s_mul_hi_u32 s5, s26, s12
	v_mul_lo_u32 v2, s0, v8
	s_add_u32 s45, s24, s8
	s_mul_i32 s7, s27, s12
	s_addc_u32 s46, s25, s9
	s_add_i32 s2, s5, s13
	v_mul_u32_u24_e32 v1, s1, v1
	s_mul_i32 s6, s26, s12
	s_add_i32 s7, s2, s7
	s_delay_alu instid0(SALU_CYCLE_1) | instskip(NEXT) | instid1(VALU_DEP_1)
	s_lshl_b64 s[0:1], s[6:7], 2
	v_add3_u32 v22, v2, v1, v0
	s_add_u32 s42, s10, s0
	s_addc_u32 s43, s11, s1
	s_add_i32 s44, s22, -1
	s_mov_b32 s0, s23
	s_cmp_lt_i32 s44, 0
	s_mov_b32 s10, s44
	s_cbranch_scc1 .LBB7_235
; %bb.3:
	s_sub_i32 s47, s23, s22
	s_add_i32 s71, s23, -1
	s_sub_i32 s48, s22, s23
	s_cmp_eq_u32 s23, s22
	v_lshlrev_b32_e32 v0, 4, v22
	s_cselect_b32 s3, -1, 0
	s_add_i32 s49, s21, 1
	s_lshl_b32 s50, s22, 1
	s_add_u32 s51, s20, 16
	s_addc_u32 s52, s33, 0
	s_add_u32 s53, s45, 16
	s_addc_u32 s54, s46, 0
	s_add_u32 s55, s45, -16
	s_addc_u32 s56, s46, -1
	s_add_u32 s57, s20, -16
	s_addc_u32 s58, s33, -1
	s_add_u32 s59, s24, s8
	s_addc_u32 s60, s25, s9
	s_add_u32 s5, s28, s30
	s_addc_u32 s6, s29, s31
	;; [unrolled: 2-line block ×4, first 2 shown]
	v_add_co_u32 v28, s5, s63, v23
	v_add_nc_u32_e32 v24, 0x1c20, v0
	v_dual_mov_b32 v10, 0 :: v_dual_add_nc_u32 v25, 0xc20, v0
	v_add_co_ci_u32_e64 v29, null, s64, 0, s5
	v_add_co_u32 v0, s5, s59, v23
	v_add_nc_u32_e32 v2, s23, v8
	v_add_co_ci_u32_e64 v1, null, s60, 0, s5
	s_delay_alu instid0(VALU_DEP_3) | instskip(NEXT) | instid1(VALU_DEP_3)
	v_add_co_u32 v30, vcc_lo, v0, 8
	v_subrev_nc_u32_e32 v2, s22, v2
	s_ashr_i32 s7, s21, 31
	s_mov_b32 s6, s21
	v_add_co_ci_u32_e32 v31, vcc_lo, 0, v1, vcc_lo
	v_add_co_u32 v32, vcc_lo, v0, 16
	s_lshl_b64 s[12:13], s[6:7], 4
	v_lshlrev_b32_e32 v26, 3, v8
	v_lshl_or_b32 v27, v8, 2, 0x800
	v_cmp_gt_u32_e64 s0, 0x80, v8
	v_cmp_gt_u32_e64 s1, 64, v8
	;; [unrolled: 1-line block ×3, first 2 shown]
	s_add_u32 s65, s59, 8
	v_add_co_ci_u32_e32 v33, vcc_lo, 0, v1, vcc_lo
	v_add_nc_u32_e32 v34, 1, v2
	s_addc_u32 s66, s60, 0
	s_ashr_i32 s7, s22, 31
	s_mov_b32 s6, s22
	s_mov_b32 s36, 0x66afed07
	s_lshl_b64 s[34:35], s[6:7], 4
	s_lshl_b32 s67, s21, 8
	s_mov_b32 s37, 0x3fe47e0f
	s_lshl_b32 s68, s22, 8
	s_mov_b32 s69, 0
	s_xor_b32 s70, s3, -1
	s_mov_b32 s10, s44
	s_branch .LBB7_6
.LBB7_4:                                ;   in Loop: Header=BB7_6 Depth=1
	s_or_b32 exec_lo, exec_lo, s3
	s_add_i32 s10, s5, s10
	s_delay_alu instid0(SALU_CYCLE_1)
	s_add_i32 s71, s10, s47
	s_cmp_lt_i32 s10, 0
	s_cselect_b32 s3, -1, 0
.LBB7_5:                                ;   in Loop: Header=BB7_6 Depth=1
	s_delay_alu instid0(SALU_CYCLE_1)
	s_and_b32 vcc_lo, exec_lo, s3
	s_cbranch_vccnz .LBB7_234
.LBB7_6:                                ; =>This Loop Header: Depth=1
                                        ;     Child Loop BB7_9 Depth 2
                                        ;     Child Loop BB7_16 Depth 2
                                        ;       Child Loop BB7_18 Depth 3
                                        ;     Child Loop BB7_22 Depth 2
                                        ;     Child Loop BB7_67 Depth 2
	;; [unrolled: 1-line block ×4, first 2 shown]
                                        ;       Child Loop BB7_79 Depth 3
                                        ;     Child Loop BB7_84 Depth 2
                                        ;     Child Loop BB7_128 Depth 2
	;; [unrolled: 1-line block ×9, first 2 shown]
	s_cmp_le_i32 s10, s48
	s_cselect_b32 s3, -1, 0
	s_delay_alu instid0(SALU_CYCLE_1) | instskip(NEXT) | instid1(SALU_CYCLE_1)
	s_and_b32 s3, s70, s3
	s_and_b32 vcc_lo, exec_lo, s3
	s_mov_b32 s3, -1
	s_cbranch_vccnz .LBB7_5
; %bb.7:                                ;   in Loop: Header=BB7_6 Depth=1
	v_cmp_ge_i32_e64 s5, s10, v8
	s_delay_alu instid0(VALU_DEP_1)
	s_and_saveexec_b32 s6, s5
	s_cbranch_execz .LBB7_10
; %bb.8:                                ;   in Loop: Header=BB7_6 Depth=1
	v_mad_u64_u32 v[0:1], null, s71, s22, v[8:9]
	v_mad_u64_u32 v[2:3], null, s10, s21, v[8:9]
	v_mov_b32_e32 v4, v8
	s_mov_b32 s7, 0
	s_delay_alu instid0(VALU_DEP_3) | instskip(NEXT) | instid1(VALU_DEP_3)
	v_ashrrev_i32_e32 v1, 31, v0
	v_ashrrev_i32_e32 v3, 31, v2
	s_delay_alu instid0(VALU_DEP_2) | instskip(NEXT) | instid1(VALU_DEP_2)
	v_lshlrev_b64 v[0:1], 4, v[0:1]
	v_lshlrev_b64 v[2:3], 4, v[2:3]
	s_delay_alu instid0(VALU_DEP_2) | instskip(NEXT) | instid1(VALU_DEP_3)
	v_add_co_u32 v0, vcc_lo, s59, v0
	v_add_co_ci_u32_e32 v1, vcc_lo, s60, v1, vcc_lo
	s_delay_alu instid0(VALU_DEP_3) | instskip(NEXT) | instid1(VALU_DEP_4)
	v_add_co_u32 v2, vcc_lo, s61, v2
	v_add_co_ci_u32_e32 v3, vcc_lo, s62, v3, vcc_lo
	.p2align	6
.LBB7_9:                                ;   Parent Loop BB7_6 Depth=1
                                        ; =>  This Inner Loop Header: Depth=2
	global_load_b128 v[11:14], v[2:3], off
	v_add_nc_u32_e32 v4, 0x100, v4
	v_add_co_u32 v2, vcc_lo, 0x1000, v2
	v_add_co_ci_u32_e32 v3, vcc_lo, 0, v3, vcc_lo
	s_delay_alu instid0(VALU_DEP_3) | instskip(SKIP_4) | instid1(VALU_DEP_1)
	v_cmp_lt_i32_e32 vcc_lo, s10, v4
	s_or_b32 s7, vcc_lo, s7
	s_waitcnt vmcnt(0)
	global_store_b128 v[0:1], v[11:14], off
	v_add_co_u32 v0, s3, 0x1000, v0
	v_add_co_ci_u32_e64 v1, s3, 0, v1, s3
	s_and_not1_b32 exec_lo, exec_lo, s7
	s_cbranch_execnz .LBB7_9
.LBB7_10:                               ;   in Loop: Header=BB7_6 Depth=1
	s_or_b32 exec_lo, exec_lo, s6
	s_cmp_ge_i32 s10, s44
	s_mov_b32 s3, -1
	s_cselect_b32 s72, -1, 0
	s_cmp_lt_i32 s10, s44
	s_waitcnt_vscnt null, 0x0
	s_waitcnt lgkmcnt(0)
	s_barrier
	buffer_gl0_inv
                                        ; implicit-def: $sgpr38
	s_cbranch_scc1 .LBB7_12
; %bb.11:                               ;   in Loop: Header=BB7_6 Depth=1
	s_mul_i32 s38, s71, s22
	s_mov_b32 s3, 0
	s_ashr_i32 s39, s38, 31
.LBB7_12:                               ;   in Loop: Header=BB7_6 Depth=1
	s_and_not1_b32 vcc_lo, exec_lo, s3
	s_cbranch_vccnz .LBB7_20
; %bb.13:                               ;   in Loop: Header=BB7_6 Depth=1
	s_mul_i32 s38, s71, s22
	s_delay_alu instid0(SALU_CYCLE_1)
	s_ashr_i32 s39, s38, 31
	s_and_saveexec_b32 s73, s5
	s_cbranch_execz .LBB7_19
; %bb.14:                               ;   in Loop: Header=BB7_6 Depth=1
	s_add_i32 s3, s10, 1
	s_not_b32 s74, s10
	s_mul_i32 s6, s3, s21
	s_add_i32 s3, s71, 1
	s_lshl_b64 s[76:77], s[38:39], 4
	s_mul_i32 s40, s3, s22
	s_add_i32 s74, s74, s22
	s_ashr_i32 s7, s6, 31
	s_ashr_i32 s41, s40, 31
	s_add_u32 s75, s45, s76
	s_addc_u32 s76, s46, s77
	s_cmp_gt_i32 s74, 0
	s_mov_b32 s11, s69
	s_cselect_b32 s78, -1, 0
	s_lshl_b64 s[6:7], s[6:7], 4
	s_lshl_b64 s[40:41], s[40:41], 4
	;; [unrolled: 1-line block ×3, first 2 shown]
	v_add_co_u32 v0, vcc_lo, v28, s6
	v_add_co_ci_u32_e32 v1, vcc_lo, s7, v29, vcc_lo
	s_add_u32 s3, s40, s80
	v_mov_b32_e32 v9, v8
	s_addc_u32 s7, s41, s81
	s_add_u32 s6, s65, s3
	s_mov_b32 s77, 0
	s_addc_u32 s7, s66, s7
	s_branch .LBB7_16
.LBB7_15:                               ;   in Loop: Header=BB7_16 Depth=2
	v_lshlrev_b64 v[6:7], 4, v[9:10]
	s_delay_alu instid0(VALU_DEP_2)
	v_fma_f64 v[15:16], 0x80000000, v[2:3], -v[4:5]
	v_fma_f64 v[4:5], v[4:5], 0, -v[2:3]
	v_add_nc_u32_e32 v9, 0x100, v9
	v_add_co_u32 v0, s3, 0x1000, v0
	v_add_co_u32 v6, vcc_lo, s75, v6
	v_add_co_ci_u32_e32 v7, vcc_lo, s76, v7, vcc_lo
	s_delay_alu instid0(VALU_DEP_4)
	v_cmp_lt_i32_e32 vcc_lo, s10, v9
	v_add_co_ci_u32_e64 v1, s3, 0, v1, s3
	global_load_b128 v[11:14], v[6:7], off
	s_or_b32 s77, vcc_lo, s77
	s_waitcnt vmcnt(0)
	v_fma_f64 v[2:3], 0x80000000, v[13:14], v[11:12]
	v_fma_f64 v[11:12], v[11:12], 0, v[13:14]
	s_delay_alu instid0(VALU_DEP_2) | instskip(NEXT) | instid1(VALU_DEP_2)
	v_add_f64 v[2:3], v[15:16], v[2:3]
	v_add_f64 v[4:5], v[4:5], v[11:12]
	global_store_b128 v[6:7], v[2:5], off
	s_and_not1_b32 exec_lo, exec_lo, s77
	s_cbranch_execz .LBB7_19
.LBB7_16:                               ;   Parent Loop BB7_6 Depth=1
                                        ; =>  This Loop Header: Depth=2
                                        ;       Child Loop BB7_18 Depth 3
	v_mov_b32_e32 v2, 0
	v_mov_b32_e32 v3, 0
	s_and_not1_b32 vcc_lo, exec_lo, s78
	s_delay_alu instid0(VALU_DEP_1)
	v_dual_mov_b32 v5, v3 :: v_dual_mov_b32 v4, v2
	s_cbranch_vccnz .LBB7_15
; %bb.17:                               ;   in Loop: Header=BB7_16 Depth=2
	v_dual_mov_b32 v2, 0 :: v_dual_mov_b32 v7, v1
	v_dual_mov_b32 v3, 0 :: v_dual_mov_b32 v6, v0
	s_mov_b64 s[40:41], s[6:7]
	s_mov_b32 s3, s74
	s_delay_alu instid0(VALU_DEP_1)
	v_dual_mov_b32 v5, v3 :: v_dual_mov_b32 v4, v2
	.p2align	6
.LBB7_18:                               ;   Parent Loop BB7_6 Depth=1
                                        ;     Parent Loop BB7_16 Depth=2
                                        ; =>    This Inner Loop Header: Depth=3
	global_load_b128 v[11:14], v10, s[40:41] offset:-8
	global_load_b128 v[15:18], v[6:7], off offset:-8
	v_add_co_u32 v6, vcc_lo, v6, s12
	s_add_i32 s3, s3, -1
	v_add_co_ci_u32_e32 v7, vcc_lo, s13, v7, vcc_lo
	s_add_u32 s40, s40, s34
	s_addc_u32 s41, s41, s35
	s_cmp_eq_u32 s3, 0
	s_waitcnt vmcnt(0)
	v_mul_f64 v[19:20], v[13:14], v[17:18]
	v_mul_f64 v[17:18], v[11:12], v[17:18]
	s_delay_alu instid0(VALU_DEP_2) | instskip(NEXT) | instid1(VALU_DEP_2)
	v_fma_f64 v[11:12], v[11:12], v[15:16], -v[19:20]
	v_fma_f64 v[13:14], v[13:14], v[15:16], v[17:18]
	s_delay_alu instid0(VALU_DEP_2) | instskip(NEXT) | instid1(VALU_DEP_2)
	v_add_f64 v[4:5], v[4:5], v[11:12]
	v_add_f64 v[2:3], v[2:3], v[13:14]
	s_cbranch_scc0 .LBB7_18
	s_branch .LBB7_15
.LBB7_19:                               ;   in Loop: Header=BB7_6 Depth=1
	s_or_b32 exec_lo, exec_lo, s73
	s_waitcnt_vscnt null, 0x0
	s_barrier
	buffer_gl0_inv
.LBB7_20:                               ;   in Loop: Header=BB7_6 Depth=1
	v_mov_b32_e32 v0, 0
	v_cmp_gt_i32_e64 s3, s10, v8
	v_mov_b32_e32 v1, 0
	v_bfrev_b32_e32 v4, -2
	s_delay_alu instid0(VALU_DEP_3)
	s_and_saveexec_b32 s11, s3
	s_cbranch_execz .LBB7_24
; %bb.21:                               ;   in Loop: Header=BB7_6 Depth=1
	s_lshl_b64 s[6:7], s[38:39], 4
	v_dual_mov_b32 v0, 0 :: v_dual_mov_b32 v5, v8
	v_add_co_u32 v2, vcc_lo, v30, s6
	v_add_co_ci_u32_e32 v3, vcc_lo, s7, v31, vcc_lo
	v_mov_b32_e32 v1, 0
	v_bfrev_b32_e32 v4, -2
	s_mov_b32 s39, 0
	s_set_inst_prefetch_distance 0x1
	.p2align	6
.LBB7_22:                               ;   Parent Loop BB7_6 Depth=1
                                        ; =>  This Inner Loop Header: Depth=2
	global_load_b128 v[11:14], v[2:3], off offset:-8
	v_add_co_u32 v2, s7, 0x1000, v2
	s_delay_alu instid0(VALU_DEP_1)
	v_add_co_ci_u32_e64 v3, s7, 0, v3, s7
	v_add_nc_u32_e32 v9, 1, v5
	s_waitcnt vmcnt(0)
	v_cmp_gt_f64_e32 vcc_lo, 0, v[13:14]
	v_cmp_gt_f64_e64 s6, 0, v[11:12]
	v_xor_b32_e32 v6, 0x80000000, v12
	v_xor_b32_e32 v7, 0x80000000, v14
	s_delay_alu instid0(VALU_DEP_1) | instskip(NEXT) | instid1(VALU_DEP_3)
	v_cndmask_b32_e32 v14, v14, v7, vcc_lo
	v_cndmask_b32_e64 v12, v12, v6, s6
	v_cmp_eq_u32_e64 s6, 0x7fffffff, v4
	s_delay_alu instid0(VALU_DEP_2) | instskip(NEXT) | instid1(VALU_DEP_1)
	v_add_f64 v[6:7], v[11:12], v[13:14]
	v_cmp_lt_f64_e32 vcc_lo, v[0:1], v[6:7]
	s_delay_alu instid0(VALU_DEP_3) | instskip(SKIP_2) | instid1(VALU_DEP_2)
	s_or_b32 vcc_lo, vcc_lo, s6
	v_dual_cndmask_b32 v0, v0, v6 :: v_dual_add_nc_u32 v5, 0x100, v5
	v_dual_cndmask_b32 v4, v4, v9 :: v_dual_cndmask_b32 v1, v1, v7
	v_cmp_le_i32_e64 s7, s10, v5
	s_delay_alu instid0(VALU_DEP_1) | instskip(NEXT) | instid1(SALU_CYCLE_1)
	s_or_b32 s39, s7, s39
	s_and_not1_b32 exec_lo, exec_lo, s39
	s_cbranch_execnz .LBB7_22
; %bb.23:                               ;   in Loop: Header=BB7_6 Depth=1
	s_set_inst_prefetch_distance 0x2
	s_or_b32 exec_lo, exec_lo, s39
.LBB7_24:                               ;   in Loop: Header=BB7_6 Depth=1
	s_delay_alu instid0(SALU_CYCLE_1)
	s_or_b32 exec_lo, exec_lo, s11
	s_cmp_lt_i32 s10, 2
	ds_store_b64 v26, v[0:1]
	ds_store_b32 v27, v4
	s_waitcnt lgkmcnt(0)
	s_barrier
	buffer_gl0_inv
	s_cbranch_scc1 .LBB7_61
; %bb.25:                               ;   in Loop: Header=BB7_6 Depth=1
	s_and_saveexec_b32 s7, s0
	s_cbranch_execz .LBB7_31
; %bb.26:                               ;   in Loop: Header=BB7_6 Depth=1
	ds_load_b64 v[2:3], v26 offset:1024
	ds_load_b32 v5, v27 offset:512
	s_mov_b32 s39, exec_lo
	s_waitcnt lgkmcnt(1)
	v_cmp_lt_f64_e64 s11, v[0:1], v[2:3]
	v_cmpx_nlt_f64_e32 v[0:1], v[2:3]
	s_cbranch_execz .LBB7_28
; %bb.27:                               ;   in Loop: Header=BB7_6 Depth=1
	v_cmp_eq_f64_e32 vcc_lo, v[0:1], v[2:3]
	s_waitcnt lgkmcnt(0)
	v_cmp_gt_i32_e64 s6, v4, v5
	s_delay_alu instid0(VALU_DEP_4) | instskip(NEXT) | instid1(VALU_DEP_1)
	s_and_not1_b32 s11, s11, exec_lo
	s_and_b32 s6, vcc_lo, s6
	s_delay_alu instid0(SALU_CYCLE_1) | instskip(NEXT) | instid1(SALU_CYCLE_1)
	s_and_b32 s6, s6, exec_lo
	s_or_b32 s11, s11, s6
.LBB7_28:                               ;   in Loop: Header=BB7_6 Depth=1
	s_or_b32 exec_lo, exec_lo, s39
	s_delay_alu instid0(VALU_DEP_2)
	s_and_saveexec_b32 s6, s11
	s_cbranch_execz .LBB7_30
; %bb.29:                               ;   in Loop: Header=BB7_6 Depth=1
	v_dual_mov_b32 v0, v2 :: v_dual_mov_b32 v1, v3
	s_waitcnt lgkmcnt(0)
	v_mov_b32_e32 v4, v5
	ds_store_b64 v26, v[2:3]
	ds_store_b32 v27, v5
.LBB7_30:                               ;   in Loop: Header=BB7_6 Depth=1
	s_or_b32 exec_lo, exec_lo, s6
.LBB7_31:                               ;   in Loop: Header=BB7_6 Depth=1
	s_delay_alu instid0(SALU_CYCLE_1)
	s_or_b32 exec_lo, exec_lo, s7
	s_waitcnt lgkmcnt(0)
	s_barrier
	buffer_gl0_inv
	s_and_saveexec_b32 s7, s1
	s_cbranch_execz .LBB7_37
; %bb.32:                               ;   in Loop: Header=BB7_6 Depth=1
	ds_load_b64 v[2:3], v26 offset:512
	ds_load_b32 v5, v27 offset:256
	s_mov_b32 s39, exec_lo
	s_waitcnt lgkmcnt(1)
	v_cmp_lt_f64_e64 s11, v[0:1], v[2:3]
	v_cmpx_nlt_f64_e32 v[0:1], v[2:3]
	s_cbranch_execz .LBB7_34
; %bb.33:                               ;   in Loop: Header=BB7_6 Depth=1
	v_cmp_eq_f64_e32 vcc_lo, v[0:1], v[2:3]
	s_waitcnt lgkmcnt(0)
	v_cmp_gt_i32_e64 s6, v4, v5
	s_delay_alu instid0(VALU_DEP_4) | instskip(NEXT) | instid1(VALU_DEP_1)
	s_and_not1_b32 s11, s11, exec_lo
	s_and_b32 s6, vcc_lo, s6
	s_delay_alu instid0(SALU_CYCLE_1) | instskip(NEXT) | instid1(SALU_CYCLE_1)
	s_and_b32 s6, s6, exec_lo
	s_or_b32 s11, s11, s6
.LBB7_34:                               ;   in Loop: Header=BB7_6 Depth=1
	s_or_b32 exec_lo, exec_lo, s39
	s_delay_alu instid0(VALU_DEP_2)
	s_and_saveexec_b32 s6, s11
	s_cbranch_execz .LBB7_36
; %bb.35:                               ;   in Loop: Header=BB7_6 Depth=1
	v_dual_mov_b32 v0, v2 :: v_dual_mov_b32 v1, v3
	s_waitcnt lgkmcnt(0)
	v_mov_b32_e32 v4, v5
	ds_store_b64 v26, v[2:3]
	ds_store_b32 v27, v5
.LBB7_36:                               ;   in Loop: Header=BB7_6 Depth=1
	s_or_b32 exec_lo, exec_lo, s6
.LBB7_37:                               ;   in Loop: Header=BB7_6 Depth=1
	s_delay_alu instid0(SALU_CYCLE_1)
	s_or_b32 exec_lo, exec_lo, s7
	s_waitcnt lgkmcnt(0)
	s_barrier
	buffer_gl0_inv
	s_and_saveexec_b32 s11, s2
	s_cbranch_execz .LBB7_60
; %bb.38:                               ;   in Loop: Header=BB7_6 Depth=1
	ds_load_b64 v[2:3], v26 offset:256
	ds_load_b32 v5, v27 offset:128
	s_mov_b32 s39, exec_lo
	s_waitcnt lgkmcnt(1)
	v_cmp_lt_f64_e64 s7, v[0:1], v[2:3]
	v_cmpx_nlt_f64_e32 v[0:1], v[2:3]
	s_cbranch_execz .LBB7_40
; %bb.39:                               ;   in Loop: Header=BB7_6 Depth=1
	v_cmp_eq_f64_e32 vcc_lo, v[0:1], v[2:3]
	s_waitcnt lgkmcnt(0)
	v_cmp_gt_i32_e64 s6, v4, v5
	s_delay_alu instid0(VALU_DEP_4) | instskip(NEXT) | instid1(VALU_DEP_1)
	s_and_not1_b32 s7, s7, exec_lo
	s_and_b32 s6, vcc_lo, s6
	s_delay_alu instid0(SALU_CYCLE_1) | instskip(NEXT) | instid1(SALU_CYCLE_1)
	s_and_b32 s6, s6, exec_lo
	s_or_b32 s7, s7, s6
.LBB7_40:                               ;   in Loop: Header=BB7_6 Depth=1
	s_or_b32 exec_lo, exec_lo, s39
	s_delay_alu instid0(VALU_DEP_2)
	s_and_saveexec_b32 s6, s7
	s_cbranch_execz .LBB7_42
; %bb.41:                               ;   in Loop: Header=BB7_6 Depth=1
	v_mov_b32_e32 v0, v2
	s_waitcnt lgkmcnt(0)
	v_dual_mov_b32 v4, v5 :: v_dual_mov_b32 v1, v3
	ds_store_b64 v26, v[2:3]
	ds_store_b32 v27, v5
.LBB7_42:                               ;   in Loop: Header=BB7_6 Depth=1
	s_or_b32 exec_lo, exec_lo, s6
	ds_load_b64 v[2:3], v26 offset:128
	s_waitcnt lgkmcnt(1)
	ds_load_b32 v5, v27 offset:64
	s_mov_b32 s39, exec_lo
	s_waitcnt lgkmcnt(1)
	v_cmp_lt_f64_e64 s7, v[0:1], v[2:3]
	v_cmpx_nlt_f64_e32 v[0:1], v[2:3]
	s_cbranch_execz .LBB7_44
; %bb.43:                               ;   in Loop: Header=BB7_6 Depth=1
	v_cmp_eq_f64_e32 vcc_lo, v[0:1], v[2:3]
	s_waitcnt lgkmcnt(0)
	v_cmp_gt_i32_e64 s6, v4, v5
	s_delay_alu instid0(VALU_DEP_4) | instskip(NEXT) | instid1(VALU_DEP_1)
	s_and_not1_b32 s7, s7, exec_lo
	s_and_b32 s6, vcc_lo, s6
	s_delay_alu instid0(SALU_CYCLE_1) | instskip(NEXT) | instid1(SALU_CYCLE_1)
	s_and_b32 s6, s6, exec_lo
	s_or_b32 s7, s7, s6
.LBB7_44:                               ;   in Loop: Header=BB7_6 Depth=1
	s_or_b32 exec_lo, exec_lo, s39
	s_delay_alu instid0(VALU_DEP_2)
	s_and_saveexec_b32 s6, s7
	s_cbranch_execz .LBB7_46
; %bb.45:                               ;   in Loop: Header=BB7_6 Depth=1
	v_mov_b32_e32 v0, v2
	s_waitcnt lgkmcnt(0)
	v_dual_mov_b32 v4, v5 :: v_dual_mov_b32 v1, v3
	ds_store_b64 v26, v[2:3]
	ds_store_b32 v27, v5
.LBB7_46:                               ;   in Loop: Header=BB7_6 Depth=1
	s_or_b32 exec_lo, exec_lo, s6
	ds_load_b64 v[2:3], v26 offset:64
	s_waitcnt lgkmcnt(1)
	;; [unrolled: 31-line block ×5, first 2 shown]
	ds_load_b32 v5, v27 offset:4
	s_waitcnt lgkmcnt(1)
	v_cmp_eq_f64_e32 vcc_lo, v[0:1], v[2:3]
	v_cmp_lt_f64_e64 s6, v[0:1], v[2:3]
	s_waitcnt lgkmcnt(0)
	v_cmp_gt_i32_e64 s7, v4, v5
	s_delay_alu instid0(VALU_DEP_1)
	s_and_b32 s7, vcc_lo, s7
	s_delay_alu instid0(VALU_DEP_2) | instid1(SALU_CYCLE_1)
	s_or_b32 s6, s6, s7
	s_delay_alu instid0(SALU_CYCLE_1)
	s_and_b32 exec_lo, exec_lo, s6
	s_cbranch_execz .LBB7_60
; %bb.59:                               ;   in Loop: Header=BB7_6 Depth=1
	ds_store_b64 v26, v[2:3]
	ds_store_b32 v27, v5
.LBB7_60:                               ;   in Loop: Header=BB7_6 Depth=1
	s_or_b32 exec_lo, exec_lo, s11
.LBB7_61:                               ;   in Loop: Header=BB7_6 Depth=1
	s_and_saveexec_b32 s6, s4
	s_cbranch_execz .LBB7_63
; %bb.62:                               ;   in Loop: Header=BB7_6 Depth=1
	s_add_i32 s40, s38, s10
	s_delay_alu instid0(SALU_CYCLE_1) | instskip(NEXT) | instid1(SALU_CYCLE_1)
	s_ashr_i32 s41, s40, 31
	s_lshl_b64 s[40:41], s[40:41], 4
	s_delay_alu instid0(SALU_CYCLE_1)
	s_add_u32 s40, s45, s40
	s_addc_u32 s41, s46, s41
	global_load_b128 v[0:3], v10, s[40:41]
	s_waitcnt vmcnt(0)
	v_cmp_gt_f64_e32 vcc_lo, 0, v[0:1]
	v_xor_b32_e32 v4, 0x80000000, v1
	v_xor_b32_e32 v5, 0x80000000, v3
	s_delay_alu instid0(VALU_DEP_2) | instskip(SKIP_1) | instid1(VALU_DEP_3)
	v_cndmask_b32_e32 v1, v1, v4, vcc_lo
	v_cmp_gt_f64_e32 vcc_lo, 0, v[2:3]
	v_cndmask_b32_e32 v3, v3, v5, vcc_lo
	s_delay_alu instid0(VALU_DEP_1)
	v_add_f64 v[0:1], v[0:1], v[2:3]
	ds_load_b32 v4, v10 offset:2048
	ds_load_b64 v[2:3], v10
	s_waitcnt lgkmcnt(1)
	v_add_nc_u32_e32 v4, -1, v4
	ds_store_b32 v10, v4 offset:3096
	s_waitcnt lgkmcnt(1)
	ds_store_b128 v10, v[0:3] offset:3072
.LBB7_63:                               ;   in Loop: Header=BB7_6 Depth=1
	s_or_b32 exec_lo, exec_lo, s6
	s_waitcnt lgkmcnt(0)
	s_barrier
	buffer_gl0_inv
	ds_load_b128 v[0:3], v10 offset:3072
	s_waitcnt lgkmcnt(0)
	v_cmp_lt_f64_e32 vcc_lo, v[0:1], v[2:3]
	v_dual_cndmask_b32 v5, v1, v3 :: v_dual_cndmask_b32 v4, v0, v2
	s_delay_alu instid0(VALU_DEP_1)
	v_cmp_neq_f64_e32 vcc_lo, 0, v[4:5]
	s_cbranch_vccz .LBB7_80
; %bb.64:                               ;   in Loop: Header=BB7_6 Depth=1
	v_mul_f64 v[2:3], v[2:3], s[36:37]
	s_delay_alu instid0(VALU_DEP_1)
	v_cmp_ge_f64_e32 vcc_lo, v[0:1], v[2:3]
	s_cbranch_vccnz .LBB7_176
; %bb.65:                               ;   in Loop: Header=BB7_6 Depth=1
	ds_load_b32 v0, v10 offset:3096
	s_mov_b32 s7, exec_lo
	s_waitcnt lgkmcnt(0)
	v_cmpx_ge_i32_e64 v0, v8
	s_cbranch_execz .LBB7_68
; %bb.66:                               ;   in Loop: Header=BB7_6 Depth=1
	v_mad_u64_u32 v[1:2], null, v0, s21, v[8:9]
	s_add_i32 s6, s71, -1
	v_mov_b32_e32 v5, v8
	v_mad_u64_u32 v[3:4], null, s6, s22, v[8:9]
	s_mov_b32 s11, 0
	s_delay_alu instid0(VALU_DEP_3) | instskip(NEXT) | instid1(VALU_DEP_2)
	v_ashrrev_i32_e32 v2, 31, v1
	v_ashrrev_i32_e32 v4, 31, v3
	s_delay_alu instid0(VALU_DEP_2) | instskip(NEXT) | instid1(VALU_DEP_2)
	v_lshlrev_b64 v[1:2], 4, v[1:2]
	v_lshlrev_b64 v[3:4], 4, v[3:4]
	s_delay_alu instid0(VALU_DEP_2) | instskip(NEXT) | instid1(VALU_DEP_3)
	v_add_co_u32 v1, vcc_lo, s61, v1
	v_add_co_ci_u32_e32 v2, vcc_lo, s62, v2, vcc_lo
	s_delay_alu instid0(VALU_DEP_3) | instskip(NEXT) | instid1(VALU_DEP_4)
	v_add_co_u32 v3, vcc_lo, s59, v3
	v_add_co_ci_u32_e32 v4, vcc_lo, s60, v4, vcc_lo
	.p2align	6
.LBB7_67:                               ;   Parent Loop BB7_6 Depth=1
                                        ; =>  This Inner Loop Header: Depth=2
	global_load_b128 v[11:14], v[1:2], off
	v_add_nc_u32_e32 v5, 0x100, v5
	v_add_co_u32 v1, vcc_lo, 0x1000, v1
	v_add_co_ci_u32_e32 v2, vcc_lo, 0, v2, vcc_lo
	s_delay_alu instid0(VALU_DEP_3) | instskip(SKIP_4) | instid1(VALU_DEP_1)
	v_cmp_gt_i32_e32 vcc_lo, v5, v0
	s_or_b32 s11, vcc_lo, s11
	s_waitcnt vmcnt(0)
	global_store_b128 v[3:4], v[11:14], off
	v_add_co_u32 v3, s6, 0x1000, v3
	v_add_co_ci_u32_e64 v4, s6, 0, v4, s6
	s_and_not1_b32 exec_lo, exec_lo, s11
	s_cbranch_execnz .LBB7_67
.LBB7_68:                               ;   in Loop: Header=BB7_6 Depth=1
	s_or_b32 exec_lo, exec_lo, s7
	v_sub_nc_u32_e32 v3, s10, v0
	s_mov_b32 s7, exec_lo
	s_delay_alu instid0(VALU_DEP_1)
	v_cmpx_gt_i32_e64 v3, v8
	s_cbranch_execz .LBB7_71
; %bb.69:                               ;   in Loop: Header=BB7_6 Depth=1
	s_add_i32 s6, s71, -1
	v_add_nc_u32_e32 v4, v21, v0
	s_mul_i32 s6, s6, s22
	s_mov_b32 s11, 0
	v_add_nc_u32_e32 v5, s6, v0
	s_delay_alu instid0(VALU_DEP_2) | instskip(SKIP_1) | instid1(VALU_DEP_3)
	v_mad_u64_u32 v[1:2], null, s21, v4, v[0:1]
	v_mov_b32_e32 v4, v8
	v_add_nc_u32_e32 v0, 1, v5
	.p2align	6
.LBB7_70:                               ;   Parent Loop BB7_6 Depth=1
                                        ; =>  This Inner Loop Header: Depth=2
	s_delay_alu instid0(VALU_DEP_3) | instskip(NEXT) | instid1(VALU_DEP_1)
	v_ashrrev_i32_e32 v2, 31, v1
	v_lshlrev_b64 v[5:6], 4, v[1:2]
	v_add_nc_u32_e32 v1, s67, v1
	s_delay_alu instid0(VALU_DEP_2) | instskip(NEXT) | instid1(VALU_DEP_3)
	v_add_co_u32 v5, vcc_lo, s20, v5
	v_add_co_ci_u32_e32 v6, vcc_lo, s33, v6, vcc_lo
	global_load_b128 v[11:14], v[5:6], off
	v_add_nc_u32_e32 v5, v0, v4
	v_add_nc_u32_e32 v4, 0x100, v4
	s_delay_alu instid0(VALU_DEP_2) | instskip(NEXT) | instid1(VALU_DEP_2)
	v_ashrrev_i32_e32 v6, 31, v5
	v_cmp_ge_i32_e32 vcc_lo, v4, v3
	s_delay_alu instid0(VALU_DEP_2) | instskip(SKIP_1) | instid1(VALU_DEP_1)
	v_lshlrev_b64 v[5:6], 4, v[5:6]
	s_or_b32 s11, vcc_lo, s11
	v_add_co_u32 v5, s6, s45, v5
	s_delay_alu instid0(VALU_DEP_1)
	v_add_co_ci_u32_e64 v6, s6, s46, v6, s6
	s_waitcnt vmcnt(0)
	global_store_b128 v[5:6], v[11:14], off
	s_and_not1_b32 exec_lo, exec_lo, s11
	s_cbranch_execnz .LBB7_70
.LBB7_71:                               ;   in Loop: Header=BB7_6 Depth=1
	s_or_b32 exec_lo, exec_lo, s7
	s_delay_alu instid0(SALU_CYCLE_1)
	s_and_not1_b32 vcc_lo, exec_lo, s72
	s_mov_b32 s6, -1
	s_waitcnt_vscnt null, 0x0
	s_barrier
	buffer_gl0_inv
                                        ; implicit-def: $sgpr40
	s_cbranch_vccnz .LBB7_73
; %bb.72:                               ;   in Loop: Header=BB7_6 Depth=1
	s_add_i32 s6, s71, -1
	s_delay_alu instid0(SALU_CYCLE_1)
	s_mul_i32 s40, s6, s22
	s_mov_b32 s6, 0
	s_ashr_i32 s41, s40, 31
.LBB7_73:                               ;   in Loop: Header=BB7_6 Depth=1
	s_and_not1_b32 vcc_lo, exec_lo, s6
	s_cbranch_vccnz .LBB7_82
; %bb.74:                               ;   in Loop: Header=BB7_6 Depth=1
	s_add_i32 s6, s71, 1
	s_delay_alu instid0(SALU_CYCLE_1) | instskip(NEXT) | instid1(SALU_CYCLE_1)
	s_mul_i32 s6, s6, s22
	s_sub_i32 s40, s6, s50
	s_delay_alu instid0(SALU_CYCLE_1)
	s_ashr_i32 s41, s40, 31
	s_and_saveexec_b32 s11, s5
	s_cbranch_execz .LBB7_81
; %bb.75:                               ;   in Loop: Header=BB7_6 Depth=1
	ds_load_b32 v0, v10 offset:3096
	s_add_i32 s74, s10, 1
	s_not_b32 s39, s10
	s_mul_i32 s76, s74, s21
	s_lshl_b64 s[72:73], s[40:41], 4
	s_ashr_i32 s7, s6, 31
	s_add_i32 s39, s39, s22
	s_ashr_i32 s77, s76, 31
	s_add_u32 s72, s45, s72
	s_addc_u32 s73, s46, s73
	s_cmp_gt_i32 s39, 0
	v_mov_b32_e32 v9, v8
	s_cselect_b32 s74, -1, 0
	s_lshl_b64 s[6:7], s[6:7], 4
	s_lshl_b64 s[76:77], s[76:77], 4
	s_waitcnt lgkmcnt(0)
	v_ashrrev_i32_e32 v1, 31, v0
	s_delay_alu instid0(VALU_DEP_1) | instskip(NEXT) | instid1(VALU_DEP_1)
	v_lshlrev_b64 v[0:1], 4, v[0:1]
	v_add_co_u32 v2, vcc_lo, v0, s6
	s_delay_alu instid0(VALU_DEP_2) | instskip(SKIP_2) | instid1(VALU_DEP_4)
	v_add_co_ci_u32_e32 v3, vcc_lo, s7, v1, vcc_lo
	v_add_co_u32 v0, vcc_lo, v28, s76
	v_add_co_ci_u32_e32 v1, vcc_lo, s77, v29, vcc_lo
	v_add_co_u32 v2, vcc_lo, s65, v2
	s_delay_alu instid0(VALU_DEP_4)
	v_add_co_ci_u32_e32 v3, vcc_lo, s66, v3, vcc_lo
	s_mov_b32 s7, 0
	s_branch .LBB7_77
.LBB7_76:                               ;   in Loop: Header=BB7_77 Depth=2
	v_lshlrev_b64 v[11:12], 4, v[9:10]
	s_delay_alu instid0(VALU_DEP_2)
	v_fma_f64 v[17:18], 0x80000000, v[4:5], -v[6:7]
	v_fma_f64 v[6:7], v[6:7], 0, -v[4:5]
	v_add_nc_u32_e32 v9, 0x100, v9
	v_add_co_u32 v0, s6, 0x1000, v0
	v_add_co_u32 v15, vcc_lo, s72, v11
	v_add_co_ci_u32_e32 v16, vcc_lo, s73, v12, vcc_lo
	s_delay_alu instid0(VALU_DEP_4)
	v_cmp_lt_i32_e32 vcc_lo, s10, v9
	v_add_co_ci_u32_e64 v1, s6, 0, v1, s6
	global_load_b128 v[11:14], v[15:16], off
	s_or_b32 s7, vcc_lo, s7
	s_waitcnt vmcnt(0)
	v_fma_f64 v[4:5], 0x80000000, v[13:14], v[11:12]
	v_fma_f64 v[11:12], v[11:12], 0, v[13:14]
	s_delay_alu instid0(VALU_DEP_2) | instskip(NEXT) | instid1(VALU_DEP_2)
	v_add_f64 v[4:5], v[17:18], v[4:5]
	v_add_f64 v[6:7], v[6:7], v[11:12]
	global_store_b128 v[15:16], v[4:7], off
	s_and_not1_b32 exec_lo, exec_lo, s7
	s_cbranch_execz .LBB7_81
.LBB7_77:                               ;   Parent Loop BB7_6 Depth=1
                                        ; =>  This Loop Header: Depth=2
                                        ;       Child Loop BB7_79 Depth 3
	v_mov_b32_e32 v4, 0
	v_mov_b32_e32 v5, 0
	s_and_not1_b32 vcc_lo, exec_lo, s74
	s_delay_alu instid0(VALU_DEP_1)
	v_dual_mov_b32 v7, v5 :: v_dual_mov_b32 v6, v4
	s_cbranch_vccnz .LBB7_76
; %bb.78:                               ;   in Loop: Header=BB7_77 Depth=2
	v_mov_b32_e32 v4, 0
	v_dual_mov_b32 v5, 0 :: v_dual_mov_b32 v12, v3
	v_dual_mov_b32 v11, v2 :: v_dual_mov_b32 v14, v1
	v_mov_b32_e32 v13, v0
	s_delay_alu instid0(VALU_DEP_3)
	v_dual_mov_b32 v7, v5 :: v_dual_mov_b32 v6, v4
	s_mov_b32 s6, s39
	.p2align	6
.LBB7_79:                               ;   Parent Loop BB7_6 Depth=1
                                        ;     Parent Loop BB7_77 Depth=2
                                        ; =>    This Inner Loop Header: Depth=3
	global_load_b128 v[15:18], v[11:12], off offset:-8
	global_load_b128 v[35:38], v[13:14], off offset:-8
	v_add_co_u32 v13, vcc_lo, v13, s12
	v_add_co_ci_u32_e32 v14, vcc_lo, s13, v14, vcc_lo
	v_add_co_u32 v11, vcc_lo, v11, s34
	v_add_co_ci_u32_e32 v12, vcc_lo, s35, v12, vcc_lo
	s_add_i32 s6, s6, -1
	s_delay_alu instid0(SALU_CYCLE_1) | instskip(SKIP_3) | instid1(VALU_DEP_2)
	s_cmp_eq_u32 s6, 0
	s_waitcnt vmcnt(0)
	v_mul_f64 v[19:20], v[17:18], v[37:38]
	v_mul_f64 v[37:38], v[15:16], v[37:38]
	v_fma_f64 v[15:16], v[15:16], v[35:36], -v[19:20]
	s_delay_alu instid0(VALU_DEP_2) | instskip(NEXT) | instid1(VALU_DEP_2)
	v_fma_f64 v[17:18], v[17:18], v[35:36], v[37:38]
	v_add_f64 v[6:7], v[6:7], v[15:16]
	s_delay_alu instid0(VALU_DEP_2)
	v_add_f64 v[4:5], v[4:5], v[17:18]
	s_cbranch_scc0 .LBB7_79
	s_branch .LBB7_76
.LBB7_80:                               ;   in Loop: Header=BB7_6 Depth=1
                                        ; implicit-def: $sgpr6
                                        ; implicit-def: $sgpr5
                                        ; implicit-def: $sgpr7
	s_cbranch_execz .LBB7_195
	s_branch .LBB7_227
.LBB7_81:                               ;   in Loop: Header=BB7_6 Depth=1
	s_or_b32 exec_lo, exec_lo, s11
	s_waitcnt_vscnt null, 0x0
	s_barrier
	buffer_gl0_inv
.LBB7_82:                               ;   in Loop: Header=BB7_6 Depth=1
	ds_load_b32 v2, v10 offset:3096
	v_mov_b32_e32 v0, 0
	v_mov_b32_e32 v1, 0
	v_bfrev_b32_e32 v4, -2
	s_mov_b32 s11, exec_lo
	s_waitcnt lgkmcnt(0)
	v_sub_nc_u32_e32 v5, s10, v2
	s_delay_alu instid0(VALU_DEP_1)
	v_cmpx_gt_i32_e64 v5, v8
	s_cbranch_execz .LBB7_86
; %bb.83:                               ;   in Loop: Header=BB7_6 Depth=1
	v_ashrrev_i32_e32 v3, 31, v2
	s_lshl_b64 s[6:7], s[40:41], 4
	v_mov_b32_e32 v0, 0
	v_dual_mov_b32 v1, 0 :: v_dual_mov_b32 v6, v8
	s_delay_alu instid0(VALU_DEP_3) | instskip(SKIP_2) | instid1(VALU_DEP_2)
	v_lshlrev_b64 v[2:3], 4, v[2:3]
	v_bfrev_b32_e32 v4, -2
	s_mov_b32 s39, 0
	v_add_co_u32 v2, vcc_lo, s6, v2
	s_delay_alu instid0(VALU_DEP_3) | instskip(NEXT) | instid1(VALU_DEP_2)
	v_add_co_ci_u32_e32 v3, vcc_lo, s7, v3, vcc_lo
	v_add_co_u32 v2, vcc_lo, v32, v2
	s_delay_alu instid0(VALU_DEP_2)
	v_add_co_ci_u32_e32 v3, vcc_lo, v33, v3, vcc_lo
	s_set_inst_prefetch_distance 0x1
	.p2align	6
.LBB7_84:                               ;   Parent Loop BB7_6 Depth=1
                                        ; =>  This Inner Loop Header: Depth=2
	global_load_b128 v[11:14], v[2:3], off
	v_add_co_u32 v2, s7, 0x1000, v2
	s_delay_alu instid0(VALU_DEP_1)
	v_add_co_ci_u32_e64 v3, s7, 0, v3, s7
	s_waitcnt vmcnt(0)
	v_cmp_gt_f64_e32 vcc_lo, 0, v[13:14]
	v_cmp_gt_f64_e64 s6, 0, v[11:12]
	v_xor_b32_e32 v7, 0x80000000, v12
	v_xor_b32_e32 v9, 0x80000000, v14
	s_delay_alu instid0(VALU_DEP_1) | instskip(NEXT) | instid1(VALU_DEP_3)
	v_cndmask_b32_e32 v14, v14, v9, vcc_lo
	v_cndmask_b32_e64 v12, v12, v7, s6
	v_add_nc_u32_e32 v7, 1, v6
	v_cmp_eq_u32_e64 s6, 0x7fffffff, v4
	s_delay_alu instid0(VALU_DEP_3) | instskip(NEXT) | instid1(VALU_DEP_1)
	v_add_f64 v[11:12], v[11:12], v[13:14]
	v_cmp_lt_f64_e32 vcc_lo, v[0:1], v[11:12]
	s_delay_alu instid0(VALU_DEP_3) | instskip(SKIP_3) | instid1(VALU_DEP_3)
	s_or_b32 vcc_lo, vcc_lo, s6
	v_dual_cndmask_b32 v1, v1, v12 :: v_dual_add_nc_u32 v6, 0x100, v6
	v_cndmask_b32_e32 v4, v4, v7, vcc_lo
	v_cndmask_b32_e32 v0, v0, v11, vcc_lo
	v_cmp_ge_i32_e64 s7, v6, v5
	s_delay_alu instid0(VALU_DEP_1) | instskip(NEXT) | instid1(SALU_CYCLE_1)
	s_or_b32 s39, s7, s39
	s_and_not1_b32 exec_lo, exec_lo, s39
	s_cbranch_execnz .LBB7_84
; %bb.85:                               ;   in Loop: Header=BB7_6 Depth=1
	s_set_inst_prefetch_distance 0x2
	s_or_b32 exec_lo, exec_lo, s39
.LBB7_86:                               ;   in Loop: Header=BB7_6 Depth=1
	s_delay_alu instid0(SALU_CYCLE_1)
	s_or_b32 exec_lo, exec_lo, s11
	v_cmp_gt_i32_e32 vcc_lo, 2, v5
	ds_store_b64 v26, v[0:1]
	ds_store_b32 v27, v4
	s_waitcnt lgkmcnt(0)
	s_barrier
	buffer_gl0_inv
	s_cbranch_vccnz .LBB7_123
; %bb.87:                               ;   in Loop: Header=BB7_6 Depth=1
	s_and_saveexec_b32 s7, s0
	s_cbranch_execz .LBB7_93
; %bb.88:                               ;   in Loop: Header=BB7_6 Depth=1
	ds_load_b64 v[2:3], v26 offset:1024
	ds_load_b32 v5, v27 offset:512
	s_mov_b32 s39, exec_lo
	s_waitcnt lgkmcnt(1)
	v_cmp_lt_f64_e64 s11, v[0:1], v[2:3]
	v_cmpx_nlt_f64_e32 v[0:1], v[2:3]
	s_cbranch_execz .LBB7_90
; %bb.89:                               ;   in Loop: Header=BB7_6 Depth=1
	v_cmp_eq_f64_e32 vcc_lo, v[0:1], v[2:3]
	s_waitcnt lgkmcnt(0)
	v_cmp_gt_i32_e64 s6, v4, v5
	s_delay_alu instid0(VALU_DEP_4) | instskip(NEXT) | instid1(VALU_DEP_1)
	s_and_not1_b32 s11, s11, exec_lo
	s_and_b32 s6, vcc_lo, s6
	s_delay_alu instid0(SALU_CYCLE_1) | instskip(NEXT) | instid1(SALU_CYCLE_1)
	s_and_b32 s6, s6, exec_lo
	s_or_b32 s11, s11, s6
.LBB7_90:                               ;   in Loop: Header=BB7_6 Depth=1
	s_or_b32 exec_lo, exec_lo, s39
	s_delay_alu instid0(VALU_DEP_2)
	s_and_saveexec_b32 s6, s11
	s_cbranch_execz .LBB7_92
; %bb.91:                               ;   in Loop: Header=BB7_6 Depth=1
	v_dual_mov_b32 v0, v2 :: v_dual_mov_b32 v1, v3
	s_waitcnt lgkmcnt(0)
	v_mov_b32_e32 v4, v5
	ds_store_b64 v26, v[2:3]
	ds_store_b32 v27, v5
.LBB7_92:                               ;   in Loop: Header=BB7_6 Depth=1
	s_or_b32 exec_lo, exec_lo, s6
.LBB7_93:                               ;   in Loop: Header=BB7_6 Depth=1
	s_delay_alu instid0(SALU_CYCLE_1)
	s_or_b32 exec_lo, exec_lo, s7
	s_waitcnt lgkmcnt(0)
	s_barrier
	buffer_gl0_inv
	s_and_saveexec_b32 s7, s1
	s_cbranch_execz .LBB7_99
; %bb.94:                               ;   in Loop: Header=BB7_6 Depth=1
	ds_load_b64 v[2:3], v26 offset:512
	ds_load_b32 v5, v27 offset:256
	s_mov_b32 s39, exec_lo
	s_waitcnt lgkmcnt(1)
	v_cmp_lt_f64_e64 s11, v[0:1], v[2:3]
	v_cmpx_nlt_f64_e32 v[0:1], v[2:3]
	s_cbranch_execz .LBB7_96
; %bb.95:                               ;   in Loop: Header=BB7_6 Depth=1
	v_cmp_eq_f64_e32 vcc_lo, v[0:1], v[2:3]
	s_waitcnt lgkmcnt(0)
	v_cmp_gt_i32_e64 s6, v4, v5
	s_delay_alu instid0(VALU_DEP_4) | instskip(NEXT) | instid1(VALU_DEP_1)
	s_and_not1_b32 s11, s11, exec_lo
	s_and_b32 s6, vcc_lo, s6
	s_delay_alu instid0(SALU_CYCLE_1) | instskip(NEXT) | instid1(SALU_CYCLE_1)
	s_and_b32 s6, s6, exec_lo
	s_or_b32 s11, s11, s6
.LBB7_96:                               ;   in Loop: Header=BB7_6 Depth=1
	s_or_b32 exec_lo, exec_lo, s39
	s_delay_alu instid0(VALU_DEP_2)
	s_and_saveexec_b32 s6, s11
	s_cbranch_execz .LBB7_98
; %bb.97:                               ;   in Loop: Header=BB7_6 Depth=1
	v_dual_mov_b32 v0, v2 :: v_dual_mov_b32 v1, v3
	s_waitcnt lgkmcnt(0)
	v_mov_b32_e32 v4, v5
	ds_store_b64 v26, v[2:3]
	ds_store_b32 v27, v5
.LBB7_98:                               ;   in Loop: Header=BB7_6 Depth=1
	s_or_b32 exec_lo, exec_lo, s6
.LBB7_99:                               ;   in Loop: Header=BB7_6 Depth=1
	s_delay_alu instid0(SALU_CYCLE_1)
	s_or_b32 exec_lo, exec_lo, s7
	s_waitcnt lgkmcnt(0)
	s_barrier
	buffer_gl0_inv
	s_and_saveexec_b32 s11, s2
	s_cbranch_execz .LBB7_122
; %bb.100:                              ;   in Loop: Header=BB7_6 Depth=1
	ds_load_b64 v[2:3], v26 offset:256
	ds_load_b32 v5, v27 offset:128
	s_mov_b32 s39, exec_lo
	s_waitcnt lgkmcnt(1)
	v_cmp_lt_f64_e64 s7, v[0:1], v[2:3]
	v_cmpx_nlt_f64_e32 v[0:1], v[2:3]
	s_cbranch_execz .LBB7_102
; %bb.101:                              ;   in Loop: Header=BB7_6 Depth=1
	v_cmp_eq_f64_e32 vcc_lo, v[0:1], v[2:3]
	s_waitcnt lgkmcnt(0)
	v_cmp_gt_i32_e64 s6, v4, v5
	s_delay_alu instid0(VALU_DEP_4) | instskip(NEXT) | instid1(VALU_DEP_1)
	s_and_not1_b32 s7, s7, exec_lo
	s_and_b32 s6, vcc_lo, s6
	s_delay_alu instid0(SALU_CYCLE_1) | instskip(NEXT) | instid1(SALU_CYCLE_1)
	s_and_b32 s6, s6, exec_lo
	s_or_b32 s7, s7, s6
.LBB7_102:                              ;   in Loop: Header=BB7_6 Depth=1
	s_or_b32 exec_lo, exec_lo, s39
	s_delay_alu instid0(VALU_DEP_2)
	s_and_saveexec_b32 s6, s7
	s_cbranch_execz .LBB7_104
; %bb.103:                              ;   in Loop: Header=BB7_6 Depth=1
	v_mov_b32_e32 v0, v2
	s_waitcnt lgkmcnt(0)
	v_dual_mov_b32 v4, v5 :: v_dual_mov_b32 v1, v3
	ds_store_b64 v26, v[2:3]
	ds_store_b32 v27, v5
.LBB7_104:                              ;   in Loop: Header=BB7_6 Depth=1
	s_or_b32 exec_lo, exec_lo, s6
	ds_load_b64 v[2:3], v26 offset:128
	s_waitcnt lgkmcnt(1)
	ds_load_b32 v5, v27 offset:64
	s_mov_b32 s39, exec_lo
	s_waitcnt lgkmcnt(1)
	v_cmp_lt_f64_e64 s7, v[0:1], v[2:3]
	v_cmpx_nlt_f64_e32 v[0:1], v[2:3]
	s_cbranch_execz .LBB7_106
; %bb.105:                              ;   in Loop: Header=BB7_6 Depth=1
	v_cmp_eq_f64_e32 vcc_lo, v[0:1], v[2:3]
	s_waitcnt lgkmcnt(0)
	v_cmp_gt_i32_e64 s6, v4, v5
	s_delay_alu instid0(VALU_DEP_4) | instskip(NEXT) | instid1(VALU_DEP_1)
	s_and_not1_b32 s7, s7, exec_lo
	s_and_b32 s6, vcc_lo, s6
	s_delay_alu instid0(SALU_CYCLE_1) | instskip(NEXT) | instid1(SALU_CYCLE_1)
	s_and_b32 s6, s6, exec_lo
	s_or_b32 s7, s7, s6
.LBB7_106:                              ;   in Loop: Header=BB7_6 Depth=1
	s_or_b32 exec_lo, exec_lo, s39
	s_delay_alu instid0(VALU_DEP_2)
	s_and_saveexec_b32 s6, s7
	s_cbranch_execz .LBB7_108
; %bb.107:                              ;   in Loop: Header=BB7_6 Depth=1
	v_mov_b32_e32 v0, v2
	s_waitcnt lgkmcnt(0)
	v_dual_mov_b32 v4, v5 :: v_dual_mov_b32 v1, v3
	ds_store_b64 v26, v[2:3]
	ds_store_b32 v27, v5
.LBB7_108:                              ;   in Loop: Header=BB7_6 Depth=1
	s_or_b32 exec_lo, exec_lo, s6
	ds_load_b64 v[2:3], v26 offset:64
	s_waitcnt lgkmcnt(1)
	;; [unrolled: 31-line block ×5, first 2 shown]
	ds_load_b32 v5, v27 offset:4
	s_waitcnt lgkmcnt(1)
	v_cmp_eq_f64_e32 vcc_lo, v[0:1], v[2:3]
	v_cmp_lt_f64_e64 s6, v[0:1], v[2:3]
	s_waitcnt lgkmcnt(0)
	v_cmp_gt_i32_e64 s7, v4, v5
	s_delay_alu instid0(VALU_DEP_1)
	s_and_b32 s7, vcc_lo, s7
	s_delay_alu instid0(VALU_DEP_2) | instid1(SALU_CYCLE_1)
	s_or_b32 s6, s6, s7
	s_delay_alu instid0(SALU_CYCLE_1)
	s_and_b32 exec_lo, exec_lo, s6
	s_cbranch_execz .LBB7_122
; %bb.121:                              ;   in Loop: Header=BB7_6 Depth=1
	ds_store_b64 v26, v[2:3]
	ds_store_b32 v27, v5
.LBB7_122:                              ;   in Loop: Header=BB7_6 Depth=1
	s_or_b32 exec_lo, exec_lo, s11
.LBB7_123:                              ;   in Loop: Header=BB7_6 Depth=1
	s_and_saveexec_b32 s6, s4
	s_cbranch_execz .LBB7_125
; %bb.124:                              ;   in Loop: Header=BB7_6 Depth=1
	ds_load_b64 v[0:1], v10
	s_waitcnt lgkmcnt(0)
	ds_store_b64 v10, v[0:1] offset:3088
.LBB7_125:                              ;   in Loop: Header=BB7_6 Depth=1
	s_or_b32 exec_lo, exec_lo, s6
	ds_load_b32 v5, v10 offset:3096
	s_waitcnt lgkmcnt(0)
	v_cmp_gt_i32_e32 vcc_lo, 1, v5
	s_cbranch_vccnz .LBB7_170
; %bb.126:                              ;   in Loop: Header=BB7_6 Depth=1
	v_mov_b32_e32 v0, 0
	v_mov_b32_e32 v1, 0
	v_bfrev_b32_e32 v4, -2
	s_mov_b32 s11, exec_lo
	v_cmpx_gt_i32_e64 v5, v8
	s_cbranch_execz .LBB7_130
; %bb.127:                              ;   in Loop: Header=BB7_6 Depth=1
	s_lshl_b64 s[6:7], s[40:41], 4
	v_mov_b32_e32 v0, 0
	v_add_co_u32 v2, vcc_lo, v30, s6
	v_add_co_ci_u32_e32 v3, vcc_lo, s7, v31, vcc_lo
	v_dual_mov_b32 v1, 0 :: v_dual_mov_b32 v6, v8
	v_bfrev_b32_e32 v4, -2
	s_mov_b32 s39, 0
	s_set_inst_prefetch_distance 0x1
	.p2align	6
.LBB7_128:                              ;   Parent Loop BB7_6 Depth=1
                                        ; =>  This Inner Loop Header: Depth=2
	global_load_b128 v[11:14], v[2:3], off offset:-8
	v_add_co_u32 v2, s7, 0x1000, v2
	s_delay_alu instid0(VALU_DEP_1)
	v_add_co_ci_u32_e64 v3, s7, 0, v3, s7
	s_waitcnt vmcnt(0)
	v_cmp_gt_f64_e32 vcc_lo, 0, v[13:14]
	v_cmp_gt_f64_e64 s6, 0, v[11:12]
	v_xor_b32_e32 v7, 0x80000000, v12
	v_xor_b32_e32 v9, 0x80000000, v14
	s_delay_alu instid0(VALU_DEP_1) | instskip(NEXT) | instid1(VALU_DEP_3)
	v_cndmask_b32_e32 v14, v14, v9, vcc_lo
	v_cndmask_b32_e64 v12, v12, v7, s6
	v_add_nc_u32_e32 v7, 1, v6
	v_cmp_eq_u32_e64 s6, 0x7fffffff, v4
	s_delay_alu instid0(VALU_DEP_3) | instskip(NEXT) | instid1(VALU_DEP_1)
	v_add_f64 v[11:12], v[11:12], v[13:14]
	v_cmp_lt_f64_e32 vcc_lo, v[0:1], v[11:12]
	s_delay_alu instid0(VALU_DEP_3) | instskip(SKIP_3) | instid1(VALU_DEP_3)
	s_or_b32 vcc_lo, vcc_lo, s6
	v_dual_cndmask_b32 v1, v1, v12 :: v_dual_add_nc_u32 v6, 0x100, v6
	v_cndmask_b32_e32 v4, v4, v7, vcc_lo
	v_cndmask_b32_e32 v0, v0, v11, vcc_lo
	v_cmp_ge_i32_e64 s7, v6, v5
	s_delay_alu instid0(VALU_DEP_1) | instskip(NEXT) | instid1(SALU_CYCLE_1)
	s_or_b32 s39, s7, s39
	s_and_not1_b32 exec_lo, exec_lo, s39
	s_cbranch_execnz .LBB7_128
; %bb.129:                              ;   in Loop: Header=BB7_6 Depth=1
	s_set_inst_prefetch_distance 0x2
	s_or_b32 exec_lo, exec_lo, s39
.LBB7_130:                              ;   in Loop: Header=BB7_6 Depth=1
	s_delay_alu instid0(SALU_CYCLE_1)
	s_or_b32 exec_lo, exec_lo, s11
	v_cmp_eq_u32_e32 vcc_lo, 1, v5
	ds_store_b64 v26, v[0:1]
	ds_store_b32 v27, v4
	s_waitcnt lgkmcnt(0)
	s_barrier
	buffer_gl0_inv
	s_cbranch_vccnz .LBB7_167
; %bb.131:                              ;   in Loop: Header=BB7_6 Depth=1
	s_and_saveexec_b32 s7, s0
	s_cbranch_execz .LBB7_137
; %bb.132:                              ;   in Loop: Header=BB7_6 Depth=1
	ds_load_b64 v[2:3], v26 offset:1024
	ds_load_b32 v5, v27 offset:512
	s_mov_b32 s39, exec_lo
	s_waitcnt lgkmcnt(1)
	v_cmp_lt_f64_e64 s11, v[0:1], v[2:3]
	v_cmpx_nlt_f64_e32 v[0:1], v[2:3]
	s_cbranch_execz .LBB7_134
; %bb.133:                              ;   in Loop: Header=BB7_6 Depth=1
	v_cmp_eq_f64_e32 vcc_lo, v[0:1], v[2:3]
	s_waitcnt lgkmcnt(0)
	v_cmp_gt_i32_e64 s6, v4, v5
	s_delay_alu instid0(VALU_DEP_4) | instskip(NEXT) | instid1(VALU_DEP_1)
	s_and_not1_b32 s11, s11, exec_lo
	s_and_b32 s6, vcc_lo, s6
	s_delay_alu instid0(SALU_CYCLE_1) | instskip(NEXT) | instid1(SALU_CYCLE_1)
	s_and_b32 s6, s6, exec_lo
	s_or_b32 s11, s11, s6
.LBB7_134:                              ;   in Loop: Header=BB7_6 Depth=1
	s_or_b32 exec_lo, exec_lo, s39
	s_delay_alu instid0(VALU_DEP_2)
	s_and_saveexec_b32 s6, s11
	s_cbranch_execz .LBB7_136
; %bb.135:                              ;   in Loop: Header=BB7_6 Depth=1
	v_dual_mov_b32 v0, v2 :: v_dual_mov_b32 v1, v3
	s_waitcnt lgkmcnt(0)
	v_mov_b32_e32 v4, v5
	ds_store_b64 v26, v[2:3]
	ds_store_b32 v27, v5
.LBB7_136:                              ;   in Loop: Header=BB7_6 Depth=1
	s_or_b32 exec_lo, exec_lo, s6
.LBB7_137:                              ;   in Loop: Header=BB7_6 Depth=1
	s_delay_alu instid0(SALU_CYCLE_1)
	s_or_b32 exec_lo, exec_lo, s7
	s_waitcnt lgkmcnt(0)
	s_barrier
	buffer_gl0_inv
	s_and_saveexec_b32 s7, s1
	s_cbranch_execz .LBB7_143
; %bb.138:                              ;   in Loop: Header=BB7_6 Depth=1
	ds_load_b64 v[2:3], v26 offset:512
	ds_load_b32 v5, v27 offset:256
	s_mov_b32 s39, exec_lo
	s_waitcnt lgkmcnt(1)
	v_cmp_lt_f64_e64 s11, v[0:1], v[2:3]
	v_cmpx_nlt_f64_e32 v[0:1], v[2:3]
	s_cbranch_execz .LBB7_140
; %bb.139:                              ;   in Loop: Header=BB7_6 Depth=1
	v_cmp_eq_f64_e32 vcc_lo, v[0:1], v[2:3]
	s_waitcnt lgkmcnt(0)
	v_cmp_gt_i32_e64 s6, v4, v5
	s_delay_alu instid0(VALU_DEP_4) | instskip(NEXT) | instid1(VALU_DEP_1)
	s_and_not1_b32 s11, s11, exec_lo
	s_and_b32 s6, vcc_lo, s6
	s_delay_alu instid0(SALU_CYCLE_1) | instskip(NEXT) | instid1(SALU_CYCLE_1)
	s_and_b32 s6, s6, exec_lo
	s_or_b32 s11, s11, s6
.LBB7_140:                              ;   in Loop: Header=BB7_6 Depth=1
	s_or_b32 exec_lo, exec_lo, s39
	s_delay_alu instid0(VALU_DEP_2)
	s_and_saveexec_b32 s6, s11
	s_cbranch_execz .LBB7_142
; %bb.141:                              ;   in Loop: Header=BB7_6 Depth=1
	v_dual_mov_b32 v0, v2 :: v_dual_mov_b32 v1, v3
	s_waitcnt lgkmcnt(0)
	v_mov_b32_e32 v4, v5
	ds_store_b64 v26, v[2:3]
	ds_store_b32 v27, v5
.LBB7_142:                              ;   in Loop: Header=BB7_6 Depth=1
	s_or_b32 exec_lo, exec_lo, s6
.LBB7_143:                              ;   in Loop: Header=BB7_6 Depth=1
	s_delay_alu instid0(SALU_CYCLE_1)
	s_or_b32 exec_lo, exec_lo, s7
	s_waitcnt lgkmcnt(0)
	s_barrier
	buffer_gl0_inv
	s_and_saveexec_b32 s11, s2
	s_cbranch_execz .LBB7_166
; %bb.144:                              ;   in Loop: Header=BB7_6 Depth=1
	ds_load_b64 v[2:3], v26 offset:256
	ds_load_b32 v5, v27 offset:128
	s_mov_b32 s39, exec_lo
	s_waitcnt lgkmcnt(1)
	v_cmp_lt_f64_e64 s7, v[0:1], v[2:3]
	v_cmpx_nlt_f64_e32 v[0:1], v[2:3]
	s_cbranch_execz .LBB7_146
; %bb.145:                              ;   in Loop: Header=BB7_6 Depth=1
	v_cmp_eq_f64_e32 vcc_lo, v[0:1], v[2:3]
	s_waitcnt lgkmcnt(0)
	v_cmp_gt_i32_e64 s6, v4, v5
	s_delay_alu instid0(VALU_DEP_4) | instskip(NEXT) | instid1(VALU_DEP_1)
	s_and_not1_b32 s7, s7, exec_lo
	s_and_b32 s6, vcc_lo, s6
	s_delay_alu instid0(SALU_CYCLE_1) | instskip(NEXT) | instid1(SALU_CYCLE_1)
	s_and_b32 s6, s6, exec_lo
	s_or_b32 s7, s7, s6
.LBB7_146:                              ;   in Loop: Header=BB7_6 Depth=1
	s_or_b32 exec_lo, exec_lo, s39
	s_delay_alu instid0(VALU_DEP_2)
	s_and_saveexec_b32 s6, s7
	s_cbranch_execz .LBB7_148
; %bb.147:                              ;   in Loop: Header=BB7_6 Depth=1
	v_mov_b32_e32 v0, v2
	s_waitcnt lgkmcnt(0)
	v_dual_mov_b32 v4, v5 :: v_dual_mov_b32 v1, v3
	ds_store_b64 v26, v[2:3]
	ds_store_b32 v27, v5
.LBB7_148:                              ;   in Loop: Header=BB7_6 Depth=1
	s_or_b32 exec_lo, exec_lo, s6
	ds_load_b64 v[2:3], v26 offset:128
	s_waitcnt lgkmcnt(1)
	ds_load_b32 v5, v27 offset:64
	s_mov_b32 s39, exec_lo
	s_waitcnt lgkmcnt(1)
	v_cmp_lt_f64_e64 s7, v[0:1], v[2:3]
	v_cmpx_nlt_f64_e32 v[0:1], v[2:3]
	s_cbranch_execz .LBB7_150
; %bb.149:                              ;   in Loop: Header=BB7_6 Depth=1
	v_cmp_eq_f64_e32 vcc_lo, v[0:1], v[2:3]
	s_waitcnt lgkmcnt(0)
	v_cmp_gt_i32_e64 s6, v4, v5
	s_delay_alu instid0(VALU_DEP_4) | instskip(NEXT) | instid1(VALU_DEP_1)
	s_and_not1_b32 s7, s7, exec_lo
	s_and_b32 s6, vcc_lo, s6
	s_delay_alu instid0(SALU_CYCLE_1) | instskip(NEXT) | instid1(SALU_CYCLE_1)
	s_and_b32 s6, s6, exec_lo
	s_or_b32 s7, s7, s6
.LBB7_150:                              ;   in Loop: Header=BB7_6 Depth=1
	s_or_b32 exec_lo, exec_lo, s39
	s_delay_alu instid0(VALU_DEP_2)
	s_and_saveexec_b32 s6, s7
	s_cbranch_execz .LBB7_152
; %bb.151:                              ;   in Loop: Header=BB7_6 Depth=1
	v_mov_b32_e32 v0, v2
	s_waitcnt lgkmcnt(0)
	v_dual_mov_b32 v4, v5 :: v_dual_mov_b32 v1, v3
	ds_store_b64 v26, v[2:3]
	ds_store_b32 v27, v5
.LBB7_152:                              ;   in Loop: Header=BB7_6 Depth=1
	s_or_b32 exec_lo, exec_lo, s6
	ds_load_b64 v[2:3], v26 offset:64
	s_waitcnt lgkmcnt(1)
	ds_load_b32 v5, v27 offset:32
	s_mov_b32 s39, exec_lo
	s_waitcnt lgkmcnt(1)
	v_cmp_lt_f64_e64 s7, v[0:1], v[2:3]
	v_cmpx_nlt_f64_e32 v[0:1], v[2:3]
	s_cbranch_execz .LBB7_154
; %bb.153:                              ;   in Loop: Header=BB7_6 Depth=1
	v_cmp_eq_f64_e32 vcc_lo, v[0:1], v[2:3]
	s_waitcnt lgkmcnt(0)
	v_cmp_gt_i32_e64 s6, v4, v5
	s_delay_alu instid0(VALU_DEP_4) | instskip(NEXT) | instid1(VALU_DEP_1)
	s_and_not1_b32 s7, s7, exec_lo
	s_and_b32 s6, vcc_lo, s6
	s_delay_alu instid0(SALU_CYCLE_1) | instskip(NEXT) | instid1(SALU_CYCLE_1)
	s_and_b32 s6, s6, exec_lo
	s_or_b32 s7, s7, s6
.LBB7_154:                              ;   in Loop: Header=BB7_6 Depth=1
	s_or_b32 exec_lo, exec_lo, s39
	s_delay_alu instid0(VALU_DEP_2)
	s_and_saveexec_b32 s6, s7
	s_cbranch_execz .LBB7_156
; %bb.155:                              ;   in Loop: Header=BB7_6 Depth=1
	v_mov_b32_e32 v0, v2
	s_waitcnt lgkmcnt(0)
	v_dual_mov_b32 v4, v5 :: v_dual_mov_b32 v1, v3
	ds_store_b64 v26, v[2:3]
	ds_store_b32 v27, v5
.LBB7_156:                              ;   in Loop: Header=BB7_6 Depth=1
	s_or_b32 exec_lo, exec_lo, s6
	ds_load_b64 v[2:3], v26 offset:32
	s_waitcnt lgkmcnt(1)
	ds_load_b32 v5, v27 offset:16
	s_mov_b32 s39, exec_lo
	s_waitcnt lgkmcnt(1)
	v_cmp_lt_f64_e64 s7, v[0:1], v[2:3]
	v_cmpx_nlt_f64_e32 v[0:1], v[2:3]
	s_cbranch_execz .LBB7_158
; %bb.157:                              ;   in Loop: Header=BB7_6 Depth=1
	v_cmp_eq_f64_e32 vcc_lo, v[0:1], v[2:3]
	s_waitcnt lgkmcnt(0)
	v_cmp_gt_i32_e64 s6, v4, v5
	s_delay_alu instid0(VALU_DEP_4) | instskip(NEXT) | instid1(VALU_DEP_1)
	s_and_not1_b32 s7, s7, exec_lo
	s_and_b32 s6, vcc_lo, s6
	s_delay_alu instid0(SALU_CYCLE_1) | instskip(NEXT) | instid1(SALU_CYCLE_1)
	s_and_b32 s6, s6, exec_lo
	s_or_b32 s7, s7, s6
.LBB7_158:                              ;   in Loop: Header=BB7_6 Depth=1
	s_or_b32 exec_lo, exec_lo, s39
	s_delay_alu instid0(VALU_DEP_2)
	s_and_saveexec_b32 s6, s7
	s_cbranch_execz .LBB7_160
; %bb.159:                              ;   in Loop: Header=BB7_6 Depth=1
	v_mov_b32_e32 v0, v2
	s_waitcnt lgkmcnt(0)
	v_dual_mov_b32 v4, v5 :: v_dual_mov_b32 v1, v3
	ds_store_b64 v26, v[2:3]
	ds_store_b32 v27, v5
.LBB7_160:                              ;   in Loop: Header=BB7_6 Depth=1
	s_or_b32 exec_lo, exec_lo, s6
	ds_load_b64 v[2:3], v26 offset:16
	s_waitcnt lgkmcnt(1)
	ds_load_b32 v5, v27 offset:8
	s_mov_b32 s39, exec_lo
	s_waitcnt lgkmcnt(1)
	v_cmp_lt_f64_e64 s7, v[0:1], v[2:3]
	v_cmpx_nlt_f64_e32 v[0:1], v[2:3]
	s_cbranch_execz .LBB7_162
; %bb.161:                              ;   in Loop: Header=BB7_6 Depth=1
	v_cmp_eq_f64_e32 vcc_lo, v[0:1], v[2:3]
	s_waitcnt lgkmcnt(0)
	v_cmp_gt_i32_e64 s6, v4, v5
	s_delay_alu instid0(VALU_DEP_4) | instskip(NEXT) | instid1(VALU_DEP_1)
	s_and_not1_b32 s7, s7, exec_lo
	s_and_b32 s6, vcc_lo, s6
	s_delay_alu instid0(SALU_CYCLE_1) | instskip(NEXT) | instid1(SALU_CYCLE_1)
	s_and_b32 s6, s6, exec_lo
	s_or_b32 s7, s7, s6
.LBB7_162:                              ;   in Loop: Header=BB7_6 Depth=1
	s_or_b32 exec_lo, exec_lo, s39
	s_delay_alu instid0(VALU_DEP_2)
	s_and_saveexec_b32 s6, s7
	s_cbranch_execz .LBB7_164
; %bb.163:                              ;   in Loop: Header=BB7_6 Depth=1
	v_mov_b32_e32 v0, v2
	s_waitcnt lgkmcnt(0)
	v_dual_mov_b32 v4, v5 :: v_dual_mov_b32 v1, v3
	ds_store_b64 v26, v[2:3]
	ds_store_b32 v27, v5
.LBB7_164:                              ;   in Loop: Header=BB7_6 Depth=1
	s_or_b32 exec_lo, exec_lo, s6
	ds_load_b64 v[2:3], v26 offset:8
	s_waitcnt lgkmcnt(1)
	ds_load_b32 v5, v27 offset:4
	s_waitcnt lgkmcnt(1)
	v_cmp_eq_f64_e32 vcc_lo, v[0:1], v[2:3]
	v_cmp_lt_f64_e64 s6, v[0:1], v[2:3]
	s_waitcnt lgkmcnt(0)
	v_cmp_gt_i32_e64 s7, v4, v5
	s_delay_alu instid0(VALU_DEP_1)
	s_and_b32 s7, vcc_lo, s7
	s_delay_alu instid0(VALU_DEP_2) | instid1(SALU_CYCLE_1)
	s_or_b32 s6, s6, s7
	s_delay_alu instid0(SALU_CYCLE_1)
	s_and_b32 exec_lo, exec_lo, s6
	s_cbranch_execz .LBB7_166
; %bb.165:                              ;   in Loop: Header=BB7_6 Depth=1
	ds_store_b64 v26, v[2:3]
	ds_store_b32 v27, v5
.LBB7_166:                              ;   in Loop: Header=BB7_6 Depth=1
	s_or_b32 exec_lo, exec_lo, s11
.LBB7_167:                              ;   in Loop: Header=BB7_6 Depth=1
	s_and_saveexec_b32 s6, s4
	s_cbranch_execz .LBB7_169
; %bb.168:                              ;   in Loop: Header=BB7_6 Depth=1
	ds_load_b64 v[0:1], v10 offset:3088
	ds_load_b64 v[2:3], v10
	s_waitcnt lgkmcnt(0)
	v_cmp_lt_f64_e32 vcc_lo, v[0:1], v[2:3]
	v_dual_cndmask_b32 v1, v1, v3 :: v_dual_cndmask_b32 v0, v0, v2
	ds_store_b64 v10, v[0:1] offset:3088
.LBB7_169:                              ;   in Loop: Header=BB7_6 Depth=1
	s_or_b32 exec_lo, exec_lo, s6
.LBB7_170:                              ;   in Loop: Header=BB7_6 Depth=1
	s_waitcnt lgkmcnt(0)
	s_barrier
	buffer_gl0_inv
	ds_load_b128 v[2:5], v10 offset:3072
	ds_load_b64 v[0:1], v10 offset:3088
	s_waitcnt lgkmcnt(0)
	v_div_scale_f64 v[6:7], null, v[0:1], v[0:1], v[4:5]
	s_delay_alu instid0(VALU_DEP_1) | instskip(SKIP_2) | instid1(VALU_DEP_1)
	v_rcp_f64_e32 v[11:12], v[6:7]
	s_waitcnt_depctr 0xfff
	v_fma_f64 v[13:14], -v[6:7], v[11:12], 1.0
	v_fma_f64 v[11:12], v[11:12], v[13:14], v[11:12]
	s_delay_alu instid0(VALU_DEP_1) | instskip(NEXT) | instid1(VALU_DEP_1)
	v_fma_f64 v[13:14], -v[6:7], v[11:12], 1.0
	v_fma_f64 v[11:12], v[11:12], v[13:14], v[11:12]
	v_div_scale_f64 v[13:14], vcc_lo, v[4:5], v[0:1], v[4:5]
	s_delay_alu instid0(VALU_DEP_1) | instskip(NEXT) | instid1(VALU_DEP_1)
	v_mul_f64 v[15:16], v[13:14], v[11:12]
	v_fma_f64 v[6:7], -v[6:7], v[15:16], v[13:14]
	s_delay_alu instid0(VALU_DEP_1) | instskip(SKIP_1) | instid1(VALU_DEP_2)
	v_div_fmas_f64 v[6:7], v[6:7], v[11:12], v[15:16]
	v_mul_f64 v[11:12], v[4:5], s[36:37]
	v_div_fixup_f64 v[4:5], v[6:7], v[0:1], v[4:5]
	s_delay_alu instid0(VALU_DEP_1) | instskip(NEXT) | instid1(VALU_DEP_1)
	v_mul_f64 v[4:5], v[11:12], v[4:5]
	v_cmp_ge_f64_e32 vcc_lo, v[2:3], v[4:5]
	s_cbranch_vccnz .LBB7_176
; %bb.171:                              ;   in Loop: Header=BB7_6 Depth=1
	ds_load_b32 v6, v10 offset:3096
	v_mul_f64 v[0:1], v[0:1], s[36:37]
	s_waitcnt lgkmcnt(0)
	v_readfirstlane_b32 s6, v6
	s_delay_alu instid0(VALU_DEP_1) | instskip(NEXT) | instid1(SALU_CYCLE_1)
	s_add_i32 s6, s6, s40
	s_ashr_i32 s7, s6, 31
	s_delay_alu instid0(SALU_CYCLE_1) | instskip(NEXT) | instid1(SALU_CYCLE_1)
	s_lshl_b64 s[6:7], s[6:7], 4
	s_add_u32 s6, s45, s6
	s_addc_u32 s7, s46, s7
	global_load_b128 v[2:5], v10, s[6:7]
	v_readfirstlane_b32 s6, v6
	s_waitcnt vmcnt(0)
	v_cmp_gt_f64_e32 vcc_lo, 0, v[2:3]
	v_xor_b32_e32 v7, 0x80000000, v3
	v_xor_b32_e32 v9, 0x80000000, v5
	s_delay_alu instid0(VALU_DEP_2) | instskip(SKIP_1) | instid1(VALU_DEP_3)
	v_cndmask_b32_e32 v3, v3, v7, vcc_lo
	v_cmp_gt_f64_e32 vcc_lo, 0, v[4:5]
	v_cndmask_b32_e32 v5, v5, v9, vcc_lo
	s_delay_alu instid0(VALU_DEP_1) | instskip(NEXT) | instid1(VALU_DEP_1)
	v_add_f64 v[2:3], v[2:3], v[4:5]
	v_cmp_nge_f64_e32 vcc_lo, v[2:3], v[0:1]
	s_cbranch_vccnz .LBB7_199
; %bb.172:                              ;   in Loop: Header=BB7_6 Depth=1
	s_and_saveexec_b32 s7, s5
	s_cbranch_execz .LBB7_175
; %bb.173:                              ;   in Loop: Header=BB7_6 Depth=1
	v_add_nc_u32_e32 v0, s38, v8
	v_add_nc_u32_e32 v2, s40, v8
	v_mov_b32_e32 v4, v8
	s_mov_b32 s11, 0
	s_delay_alu instid0(VALU_DEP_3) | instskip(NEXT) | instid1(VALU_DEP_3)
	v_ashrrev_i32_e32 v1, 31, v0
	v_ashrrev_i32_e32 v3, 31, v2
	s_delay_alu instid0(VALU_DEP_2) | instskip(NEXT) | instid1(VALU_DEP_2)
	v_lshlrev_b64 v[0:1], 4, v[0:1]
	v_lshlrev_b64 v[2:3], 4, v[2:3]
	s_delay_alu instid0(VALU_DEP_2) | instskip(NEXT) | instid1(VALU_DEP_3)
	v_add_co_u32 v0, vcc_lo, s59, v0
	v_add_co_ci_u32_e32 v1, vcc_lo, s60, v1, vcc_lo
	s_delay_alu instid0(VALU_DEP_3) | instskip(NEXT) | instid1(VALU_DEP_4)
	v_add_co_u32 v2, vcc_lo, s59, v2
	v_add_co_ci_u32_e32 v3, vcc_lo, s60, v3, vcc_lo
	.p2align	6
.LBB7_174:                              ;   Parent Loop BB7_6 Depth=1
                                        ; =>  This Inner Loop Header: Depth=2
	global_load_b128 v[11:14], v[2:3], off
	v_add_nc_u32_e32 v4, 0x100, v4
	v_add_co_u32 v2, vcc_lo, 0x1000, v2
	v_add_co_ci_u32_e32 v3, vcc_lo, 0, v3, vcc_lo
	s_delay_alu instid0(VALU_DEP_3) | instskip(SKIP_4) | instid1(VALU_DEP_1)
	v_cmp_lt_i32_e32 vcc_lo, s10, v4
	s_or_b32 s11, vcc_lo, s11
	s_waitcnt vmcnt(0)
	global_store_b128 v[0:1], v[11:14], off
	v_add_co_u32 v0, s5, 0x1000, v0
	v_add_co_ci_u32_e64 v1, s5, 0, v1, s5
	s_and_not1_b32 exec_lo, exec_lo, s11
	s_cbranch_execnz .LBB7_174
.LBB7_175:                              ;   in Loop: Header=BB7_6 Depth=1
	s_or_b32 exec_lo, exec_lo, s7
	s_mov_b32 s7, -1
	s_mov_b32 s39, -1
	s_waitcnt_vscnt null, 0x0
	s_barrier
	buffer_gl0_inv
	s_add_i32 s11, s39, s10
	s_delay_alu instid0(SALU_CYCLE_1) | instskip(NEXT) | instid1(SALU_CYCLE_1)
	s_add_i32 s40, s11, 1
	s_cmp_eq_u32 s6, s40
	s_cbranch_scc0 .LBB7_177
	s_branch .LBB7_192
.LBB7_176:                              ;   in Loop: Header=BB7_6 Depth=1
	s_mov_b32 s7, -1
	s_mov_b32 s39, -1
	s_mov_b32 s6, s10
	s_add_i32 s11, s39, s10
	s_delay_alu instid0(SALU_CYCLE_1) | instskip(NEXT) | instid1(SALU_CYCLE_1)
	s_add_i32 s40, s11, 1
	s_cmp_eq_u32 s6, s40
	s_cbranch_scc1 .LBB7_192
.LBB7_177:                              ;   in Loop: Header=BB7_6 Depth=1
	s_and_saveexec_b32 s5, s4
	s_cbranch_execz .LBB7_179
; %bb.178:                              ;   in Loop: Header=BB7_6 Depth=1
	s_mul_i32 s72, s40, s49
	s_delay_alu instid0(SALU_CYCLE_1) | instskip(NEXT) | instid1(SALU_CYCLE_1)
	s_ashr_i32 s73, s72, 31
	s_lshl_b64 s[72:73], s[72:73], 4
	s_delay_alu instid0(SALU_CYCLE_1) | instskip(SKIP_3) | instid1(SALU_CYCLE_1)
	s_add_u32 s72, s20, s72
	s_addc_u32 s73, s33, s73
	global_load_b128 v[0:3], v10, s[72:73]
	s_mul_i32 s72, s6, s49
	s_ashr_i32 s73, s72, 31
	s_delay_alu instid0(SALU_CYCLE_1) | instskip(NEXT) | instid1(SALU_CYCLE_1)
	s_lshl_b64 s[72:73], s[72:73], 4
	s_add_u32 s72, s20, s72
	s_addc_u32 s73, s33, s73
	s_waitcnt vmcnt(0)
	global_store_b128 v10, v[0:3], s[72:73]
.LBB7_179:                              ;   in Loop: Header=BB7_6 Depth=1
	s_or_b32 exec_lo, exec_lo, s5
	s_sub_i32 s41, s11, s6
	s_mov_b32 s72, exec_lo
	v_cmpx_gt_i32_e64 s41, v8
	s_cbranch_execz .LBB7_182
; %bb.180:                              ;   in Loop: Header=BB7_6 Depth=1
	v_add_nc_u32_e32 v2, s6, v21
	s_mul_i32 s5, s40, s21
	s_mov_b32 s74, 0
	s_add_i32 s73, s6, s5
	s_delay_alu instid0(SALU_CYCLE_1)
	s_add_i32 s73, s73, 1
	v_mad_u64_u32 v[0:1], null, s21, v2, s[6:7]
	v_mov_b32_e32 v2, v8
	.p2align	6
.LBB7_181:                              ;   Parent Loop BB7_6 Depth=1
                                        ; =>  This Inner Loop Header: Depth=2
	s_delay_alu instid0(VALU_DEP_1) | instskip(NEXT) | instid1(VALU_DEP_3)
	v_add_nc_u32_e32 v3, s73, v2
	v_ashrrev_i32_e32 v1, 31, v0
	v_add_nc_u32_e32 v2, 0x100, v2
	s_delay_alu instid0(VALU_DEP_3) | instskip(NEXT) | instid1(VALU_DEP_3)
	v_ashrrev_i32_e32 v4, 31, v3
	v_lshlrev_b64 v[11:12], 4, v[0:1]
	v_add_nc_u32_e32 v0, s67, v0
	s_delay_alu instid0(VALU_DEP_3) | instskip(NEXT) | instid1(VALU_DEP_3)
	v_lshlrev_b64 v[3:4], 4, v[3:4]
	v_add_co_u32 v11, s5, s20, v11
	s_delay_alu instid0(VALU_DEP_1) | instskip(NEXT) | instid1(VALU_DEP_3)
	v_add_co_ci_u32_e64 v12, s5, s33, v12, s5
	v_add_co_u32 v3, vcc_lo, s20, v3
	s_delay_alu instid0(VALU_DEP_4)
	v_add_co_ci_u32_e32 v4, vcc_lo, s33, v4, vcc_lo
	v_cmp_le_i32_e32 vcc_lo, s41, v2
	global_load_b128 v[3:6], v[3:4], off
	s_or_b32 s74, vcc_lo, s74
	s_waitcnt vmcnt(0)
	global_store_b128 v[11:12], v[3:6], off
	s_and_not1_b32 exec_lo, exec_lo, s74
	s_cbranch_execnz .LBB7_181
.LBB7_182:                              ;   in Loop: Header=BB7_6 Depth=1
	s_or_b32 exec_lo, exec_lo, s72
	s_delay_alu instid0(SALU_CYCLE_1)
	s_mov_b32 s41, exec_lo
	v_cmpx_gt_i32_e64 s6, v8
	s_cbranch_execz .LBB7_185
; %bb.183:                              ;   in Loop: Header=BB7_6 Depth=1
	v_mad_u64_u32 v[0:1], null, s6, s21, v[8:9]
	v_mad_u64_u32 v[2:3], null, s40, s21, v[8:9]
	v_mov_b32_e32 v4, v8
	s_mov_b32 s72, 0
	s_delay_alu instid0(VALU_DEP_3) | instskip(NEXT) | instid1(VALU_DEP_3)
	v_ashrrev_i32_e32 v1, 31, v0
	v_ashrrev_i32_e32 v3, 31, v2
	s_delay_alu instid0(VALU_DEP_2) | instskip(NEXT) | instid1(VALU_DEP_2)
	v_lshlrev_b64 v[0:1], 4, v[0:1]
	v_lshlrev_b64 v[2:3], 4, v[2:3]
	s_delay_alu instid0(VALU_DEP_2) | instskip(NEXT) | instid1(VALU_DEP_3)
	v_add_co_u32 v0, vcc_lo, s61, v0
	v_add_co_ci_u32_e32 v1, vcc_lo, s62, v1, vcc_lo
	s_delay_alu instid0(VALU_DEP_3) | instskip(NEXT) | instid1(VALU_DEP_4)
	v_add_co_u32 v2, vcc_lo, s61, v2
	v_add_co_ci_u32_e32 v3, vcc_lo, s62, v3, vcc_lo
	.p2align	6
.LBB7_184:                              ;   Parent Loop BB7_6 Depth=1
                                        ; =>  This Inner Loop Header: Depth=2
	global_load_b128 v[11:14], v[2:3], off
	v_add_nc_u32_e32 v4, 0x100, v4
	v_add_co_u32 v2, vcc_lo, 0x1000, v2
	v_add_co_ci_u32_e32 v3, vcc_lo, 0, v3, vcc_lo
	s_delay_alu instid0(VALU_DEP_3) | instskip(SKIP_4) | instid1(VALU_DEP_1)
	v_cmp_le_i32_e32 vcc_lo, s6, v4
	s_or_b32 s72, vcc_lo, s72
	s_waitcnt vmcnt(0)
	global_store_b128 v[0:1], v[11:14], off
	v_add_co_u32 v0, s5, 0x1000, v0
	v_add_co_ci_u32_e64 v1, s5, 0, v1, s5
	s_and_not1_b32 exec_lo, exec_lo, s72
	s_cbranch_execnz .LBB7_184
.LBB7_185:                              ;   in Loop: Header=BB7_6 Depth=1
	s_or_b32 exec_lo, exec_lo, s41
	s_not_b32 s5, s10
	s_mov_b32 s41, exec_lo
	s_add_i32 s5, s5, s22
	s_waitcnt_vscnt null, 0x0
	s_barrier
	buffer_gl0_inv
	v_cmpx_gt_i32_e64 s5, v8
	s_cbranch_execz .LBB7_188
; %bb.186:                              ;   in Loop: Header=BB7_6 Depth=1
	v_dual_mov_b32 v1, v8 :: v_dual_add_nc_u32 v0, s10, v21
	s_ashr_i32 s72, s11, 31
	s_mov_b32 s73, 0
	s_delay_alu instid0(VALU_DEP_1)
	v_mul_lo_u32 v0, s21, v0
	s_set_inst_prefetch_distance 0x1
	.p2align	6
.LBB7_187:                              ;   Parent Loop BB7_6 Depth=1
                                        ; =>  This Inner Loop Header: Depth=2
	s_delay_alu instid0(VALU_DEP_1) | instskip(SKIP_3) | instid1(VALU_DEP_4)
	v_ashrrev_i32_e32 v3, 31, v0
	v_add_nc_u32_e32 v2, s6, v0
	v_add_co_u32 v4, vcc_lo, v0, s11
	v_add_nc_u32_e32 v1, 0x100, v1
	v_add_co_ci_u32_e32 v5, vcc_lo, s72, v3, vcc_lo
	s_delay_alu instid0(VALU_DEP_4) | instskip(SKIP_1) | instid1(VALU_DEP_3)
	v_ashrrev_i32_e32 v3, 31, v2
	v_add_nc_u32_e32 v0, s67, v0
	v_lshlrev_b64 v[4:5], 4, v[4:5]
	s_delay_alu instid0(VALU_DEP_3) | instskip(NEXT) | instid1(VALU_DEP_2)
	v_lshlrev_b64 v[2:3], 4, v[2:3]
	v_add_co_u32 v6, vcc_lo, s51, v4
	s_delay_alu instid0(VALU_DEP_3) | instskip(NEXT) | instid1(VALU_DEP_3)
	v_add_co_ci_u32_e32 v7, vcc_lo, s52, v5, vcc_lo
	v_add_co_u32 v15, vcc_lo, s20, v2
	s_delay_alu instid0(VALU_DEP_4)
	v_add_co_ci_u32_e32 v16, vcc_lo, s33, v3, vcc_lo
	v_cmp_le_i32_e32 vcc_lo, s5, v1
	s_clause 0x1
	global_load_b128 v[2:5], v[6:7], off
	global_load_b128 v[11:14], v[15:16], off
	s_or_b32 s73, vcc_lo, s73
	s_waitcnt vmcnt(1)
	ds_store_2addr_b64 v25, v[2:3], v[4:5] offset1:1
	s_waitcnt vmcnt(0)
	s_clause 0x1
	global_store_b128 v[6:7], v[11:14], off
	global_store_b128 v[15:16], v[2:5], off
	s_and_not1_b32 exec_lo, exec_lo, s73
	s_cbranch_execnz .LBB7_187
.LBB7_188:                              ;   in Loop: Header=BB7_6 Depth=1
	s_set_inst_prefetch_distance 0x2
	s_or_b32 exec_lo, exec_lo, s41
	s_sub_i32 s5, s22, s40
	s_mov_b32 s40, exec_lo
	v_cmpx_gt_i32_e64 s5, v8
	s_cbranch_execz .LBB7_191
; %bb.189:                              ;   in Loop: Header=BB7_6 Depth=1
	v_add3_u32 v0, s10, s39, v34
	v_mov_b32_e32 v1, v8
	s_ashr_i32 s39, s11, 31
	s_mov_b32 s41, 0
	s_delay_alu instid0(VALU_DEP_2)
	v_mul_lo_u32 v0, s22, v0
	s_set_inst_prefetch_distance 0x1
	.p2align	6
.LBB7_190:                              ;   Parent Loop BB7_6 Depth=1
                                        ; =>  This Inner Loop Header: Depth=2
	s_delay_alu instid0(VALU_DEP_1) | instskip(SKIP_3) | instid1(VALU_DEP_4)
	v_ashrrev_i32_e32 v3, 31, v0
	v_add_nc_u32_e32 v2, s6, v0
	v_add_co_u32 v4, vcc_lo, v0, s11
	v_add_nc_u32_e32 v1, 0x100, v1
	v_add_co_ci_u32_e32 v5, vcc_lo, s39, v3, vcc_lo
	s_delay_alu instid0(VALU_DEP_4) | instskip(SKIP_1) | instid1(VALU_DEP_3)
	v_ashrrev_i32_e32 v3, 31, v2
	v_add_nc_u32_e32 v0, s68, v0
	v_lshlrev_b64 v[4:5], 4, v[4:5]
	s_delay_alu instid0(VALU_DEP_3) | instskip(NEXT) | instid1(VALU_DEP_2)
	v_lshlrev_b64 v[2:3], 4, v[2:3]
	v_add_co_u32 v6, vcc_lo, s53, v4
	s_delay_alu instid0(VALU_DEP_3) | instskip(NEXT) | instid1(VALU_DEP_3)
	v_add_co_ci_u32_e32 v7, vcc_lo, s54, v5, vcc_lo
	v_add_co_u32 v15, vcc_lo, s45, v2
	s_delay_alu instid0(VALU_DEP_4)
	v_add_co_ci_u32_e32 v16, vcc_lo, s46, v3, vcc_lo
	v_cmp_le_i32_e32 vcc_lo, s5, v1
	s_clause 0x1
	global_load_b128 v[2:5], v[6:7], off
	global_load_b128 v[11:14], v[15:16], off
	s_or_b32 s41, vcc_lo, s41
	s_waitcnt vmcnt(1)
	ds_store_2addr_b64 v24, v[2:3], v[4:5] offset1:1
	s_waitcnt vmcnt(0)
	s_clause 0x1
	global_store_b128 v[6:7], v[11:14], off
	global_store_b128 v[15:16], v[2:5], off
	s_and_not1_b32 exec_lo, exec_lo, s41
	s_cbranch_execnz .LBB7_190
.LBB7_191:                              ;   in Loop: Header=BB7_6 Depth=1
	s_set_inst_prefetch_distance 0x2
	s_or_b32 exec_lo, exec_lo, s40
	s_waitcnt lgkmcnt(0)
	s_waitcnt_vscnt null, 0x0
	s_barrier
	buffer_gl0_inv
.LBB7_192:                              ;   in Loop: Header=BB7_6 Depth=1
	s_xor_b32 s5, s7, -1
	s_mov_b32 s7, -1
	s_and_b32 vcc_lo, exec_lo, s5
                                        ; implicit-def: $sgpr5
	s_cbranch_vccnz .LBB7_196
; %bb.193:                              ;   in Loop: Header=BB7_6 Depth=1
	s_and_b32 vcc_lo, exec_lo, s7
	s_cbranch_vccnz .LBB7_217
.LBB7_194:                              ;   in Loop: Header=BB7_6 Depth=1
.LBB7_195:                              ;   in Loop: Header=BB7_6 Depth=1
	s_and_saveexec_b32 s3, s4
	s_cbranch_execz .LBB7_4
	s_branch .LBB7_230
.LBB7_196:                              ;   in Loop: Header=BB7_6 Depth=1
	s_cmp_lt_i32 s10, 2
	s_cbranch_scc1 .LBB7_214
; %bb.197:                              ;   in Loop: Header=BB7_6 Depth=1
	s_ashr_i32 s5, s38, 31
	s_ashr_i32 s11, s10, 31
	s_add_u32 s40, s38, s10
	s_addc_u32 s41, s5, s11
	s_delay_alu instid0(SALU_CYCLE_1) | instskip(NEXT) | instid1(SALU_CYCLE_1)
	s_lshl_b64 s[40:41], s[40:41], 4
	s_add_u32 s40, s55, s40
	s_addc_u32 s41, s56, s41
	global_load_b128 v[0:3], v10, s[40:41]
	s_add_i32 s40, s38, s10
	s_delay_alu instid0(SALU_CYCLE_1) | instskip(NEXT) | instid1(SALU_CYCLE_1)
	s_ashr_i32 s41, s40, 31
	s_lshl_b64 s[40:41], s[40:41], 4
	s_delay_alu instid0(SALU_CYCLE_1)
	s_add_u32 s40, s45, s40
	s_addc_u32 s41, s46, s41
	global_load_b128 v[4:7], v10, s[40:41]
	s_waitcnt vmcnt(1)
	v_cmp_gt_f64_e32 vcc_lo, 0, v[0:1]
	v_xor_b32_e32 v9, 0x80000000, v1
	v_mov_b32_e32 v11, v0
	v_xor_b32_e32 v13, 0x80000000, v3
	s_delay_alu instid0(VALU_DEP_3) | instskip(SKIP_1) | instid1(VALU_DEP_3)
	v_cndmask_b32_e32 v12, v1, v9, vcc_lo
	v_cmp_gt_f64_e32 vcc_lo, 0, v[2:3]
	v_dual_cndmask_b32 v14, v3, v13 :: v_dual_mov_b32 v13, v2
	s_delay_alu instid0(VALU_DEP_1) | instskip(NEXT) | instid1(VALU_DEP_1)
	v_cmp_ngt_f64_e64 s5, v[11:12], v[13:14]
	s_and_b32 vcc_lo, exec_lo, s5
	s_cbranch_vccz .LBB7_200
; %bb.198:                              ;   in Loop: Header=BB7_6 Depth=1
	v_div_scale_f64 v[11:12], null, v[2:3], v[2:3], v[0:1]
	v_div_scale_f64 v[17:18], vcc_lo, v[0:1], v[2:3], v[0:1]
	s_delay_alu instid0(VALU_DEP_2) | instskip(SKIP_2) | instid1(VALU_DEP_1)
	v_rcp_f64_e32 v[13:14], v[11:12]
	s_waitcnt_depctr 0xfff
	v_fma_f64 v[15:16], -v[11:12], v[13:14], 1.0
	v_fma_f64 v[13:14], v[13:14], v[15:16], v[13:14]
	s_delay_alu instid0(VALU_DEP_1) | instskip(NEXT) | instid1(VALU_DEP_1)
	v_fma_f64 v[15:16], -v[11:12], v[13:14], 1.0
	v_fma_f64 v[13:14], v[13:14], v[15:16], v[13:14]
	s_delay_alu instid0(VALU_DEP_1) | instskip(NEXT) | instid1(VALU_DEP_1)
	v_mul_f64 v[15:16], v[17:18], v[13:14]
	v_fma_f64 v[11:12], -v[11:12], v[15:16], v[17:18]
	s_delay_alu instid0(VALU_DEP_1) | instskip(NEXT) | instid1(VALU_DEP_1)
	v_div_fmas_f64 v[11:12], v[11:12], v[13:14], v[15:16]
	v_div_fixup_f64 v[11:12], v[11:12], v[2:3], v[0:1]
	s_delay_alu instid0(VALU_DEP_1) | instskip(NEXT) | instid1(VALU_DEP_1)
	v_fma_f64 v[13:14], v[0:1], v[11:12], v[2:3]
	v_div_scale_f64 v[15:16], null, v[13:14], v[13:14], 1.0
	v_div_scale_f64 v[35:36], vcc_lo, 1.0, v[13:14], 1.0
	s_delay_alu instid0(VALU_DEP_2) | instskip(SKIP_2) | instid1(VALU_DEP_1)
	v_rcp_f64_e32 v[17:18], v[15:16]
	s_waitcnt_depctr 0xfff
	v_fma_f64 v[19:20], -v[15:16], v[17:18], 1.0
	v_fma_f64 v[17:18], v[17:18], v[19:20], v[17:18]
	s_delay_alu instid0(VALU_DEP_1) | instskip(NEXT) | instid1(VALU_DEP_1)
	v_fma_f64 v[19:20], -v[15:16], v[17:18], 1.0
	v_fma_f64 v[17:18], v[17:18], v[19:20], v[17:18]
	s_delay_alu instid0(VALU_DEP_1) | instskip(NEXT) | instid1(VALU_DEP_1)
	v_mul_f64 v[19:20], v[35:36], v[17:18]
	v_fma_f64 v[15:16], -v[15:16], v[19:20], v[35:36]
	s_delay_alu instid0(VALU_DEP_1) | instskip(SKIP_2) | instid1(VALU_DEP_2)
	v_div_fmas_f64 v[15:16], v[15:16], v[17:18], v[19:20]
	s_waitcnt vmcnt(0)
	v_fma_f64 v[17:18], v[11:12], v[4:5], v[6:7]
	v_div_fixup_f64 v[13:14], v[15:16], v[13:14], 1.0
	v_fma_f64 v[15:16], v[11:12], v[6:7], -v[4:5]
	s_delay_alu instid0(VALU_DEP_2) | instskip(NEXT) | instid1(VALU_DEP_2)
	v_mul_f64 v[11:12], v[17:18], v[13:14]
	v_mul_f64 v[13:14], v[13:14], v[15:16]
	s_cbranch_execz .LBB7_201
	s_branch .LBB7_202
.LBB7_199:                              ;   in Loop: Header=BB7_6 Depth=1
	s_mov_b32 s7, 0
	s_mov_b32 s39, -2
	s_delay_alu instid0(SALU_CYCLE_1) | instskip(NEXT) | instid1(SALU_CYCLE_1)
	s_add_i32 s11, s39, s10
	s_add_i32 s40, s11, 1
	s_delay_alu instid0(SALU_CYCLE_1)
	s_cmp_eq_u32 s6, s40
	s_cbranch_scc0 .LBB7_177
	s_branch .LBB7_192
.LBB7_200:                              ;   in Loop: Header=BB7_6 Depth=1
                                        ; implicit-def: $vgpr11_vgpr12
                                        ; implicit-def: $vgpr13_vgpr14
	s_and_not1_b32 vcc_lo, exec_lo, s7
	s_cbranch_vccnz .LBB7_202
.LBB7_201:                              ;   in Loop: Header=BB7_6 Depth=1
	v_div_scale_f64 v[11:12], null, v[0:1], v[0:1], v[2:3]
	v_div_scale_f64 v[17:18], vcc_lo, v[2:3], v[0:1], v[2:3]
	s_delay_alu instid0(VALU_DEP_2) | instskip(SKIP_2) | instid1(VALU_DEP_1)
	v_rcp_f64_e32 v[13:14], v[11:12]
	s_waitcnt_depctr 0xfff
	v_fma_f64 v[15:16], -v[11:12], v[13:14], 1.0
	v_fma_f64 v[13:14], v[13:14], v[15:16], v[13:14]
	s_delay_alu instid0(VALU_DEP_1) | instskip(NEXT) | instid1(VALU_DEP_1)
	v_fma_f64 v[15:16], -v[11:12], v[13:14], 1.0
	v_fma_f64 v[13:14], v[13:14], v[15:16], v[13:14]
	s_delay_alu instid0(VALU_DEP_1) | instskip(NEXT) | instid1(VALU_DEP_1)
	v_mul_f64 v[15:16], v[17:18], v[13:14]
	v_fma_f64 v[11:12], -v[11:12], v[15:16], v[17:18]
	s_delay_alu instid0(VALU_DEP_1) | instskip(NEXT) | instid1(VALU_DEP_1)
	v_div_fmas_f64 v[11:12], v[11:12], v[13:14], v[15:16]
	v_div_fixup_f64 v[11:12], v[11:12], v[0:1], v[2:3]
	s_delay_alu instid0(VALU_DEP_1) | instskip(NEXT) | instid1(VALU_DEP_1)
	v_fma_f64 v[13:14], v[2:3], v[11:12], v[0:1]
	v_div_scale_f64 v[15:16], null, v[13:14], v[13:14], 1.0
	v_div_scale_f64 v[35:36], vcc_lo, 1.0, v[13:14], 1.0
	s_delay_alu instid0(VALU_DEP_2) | instskip(SKIP_2) | instid1(VALU_DEP_1)
	v_rcp_f64_e32 v[17:18], v[15:16]
	s_waitcnt_depctr 0xfff
	v_fma_f64 v[19:20], -v[15:16], v[17:18], 1.0
	v_fma_f64 v[17:18], v[17:18], v[19:20], v[17:18]
	s_delay_alu instid0(VALU_DEP_1) | instskip(NEXT) | instid1(VALU_DEP_1)
	v_fma_f64 v[19:20], -v[15:16], v[17:18], 1.0
	v_fma_f64 v[17:18], v[17:18], v[19:20], v[17:18]
	s_delay_alu instid0(VALU_DEP_1) | instskip(NEXT) | instid1(VALU_DEP_1)
	v_mul_f64 v[19:20], v[35:36], v[17:18]
	v_fma_f64 v[15:16], -v[15:16], v[19:20], v[35:36]
	s_delay_alu instid0(VALU_DEP_1) | instskip(SKIP_3) | instid1(VALU_DEP_3)
	v_div_fmas_f64 v[15:16], v[15:16], v[17:18], v[19:20]
	s_waitcnt vmcnt(0)
	v_fma_f64 v[17:18], v[11:12], v[6:7], v[4:5]
	v_fma_f64 v[4:5], -v[11:12], v[4:5], v[6:7]
	v_div_fixup_f64 v[13:14], v[15:16], v[13:14], 1.0
	s_delay_alu instid0(VALU_DEP_1) | instskip(NEXT) | instid1(VALU_DEP_3)
	v_mul_f64 v[11:12], v[13:14], v[17:18]
	v_mul_f64 v[13:14], v[4:5], v[13:14]
.LBB7_202:                              ;   in Loop: Header=BB7_6 Depth=1
	s_add_i32 s7, s71, -1
	s_delay_alu instid0(SALU_CYCLE_1) | instskip(NEXT) | instid1(SALU_CYCLE_1)
	s_mul_i32 s7, s7, s22
	s_ashr_i32 s39, s7, 31
	s_add_u32 s40, s7, s10
	s_addc_u32 s41, s39, s11
	s_delay_alu instid0(SALU_CYCLE_1) | instskip(NEXT) | instid1(SALU_CYCLE_1)
	s_lshl_b64 s[40:41], s[40:41], 4
	s_add_u32 s40, s55, s40
	s_addc_u32 s41, s56, s41
	s_and_b32 vcc_lo, exec_lo, s5
	global_load_b128 v[4:7], v10, s[40:41]
	s_cbranch_vccz .LBB7_204
; %bb.203:                              ;   in Loop: Header=BB7_6 Depth=1
	v_div_scale_f64 v[15:16], null, v[2:3], v[2:3], v[0:1]
	v_div_scale_f64 v[35:36], vcc_lo, v[0:1], v[2:3], v[0:1]
	s_delay_alu instid0(VALU_DEP_2) | instskip(SKIP_2) | instid1(VALU_DEP_1)
	v_rcp_f64_e32 v[17:18], v[15:16]
	s_waitcnt_depctr 0xfff
	v_fma_f64 v[19:20], -v[15:16], v[17:18], 1.0
	v_fma_f64 v[17:18], v[17:18], v[19:20], v[17:18]
	s_delay_alu instid0(VALU_DEP_1) | instskip(NEXT) | instid1(VALU_DEP_1)
	v_fma_f64 v[19:20], -v[15:16], v[17:18], 1.0
	v_fma_f64 v[17:18], v[17:18], v[19:20], v[17:18]
	s_delay_alu instid0(VALU_DEP_1) | instskip(NEXT) | instid1(VALU_DEP_1)
	v_mul_f64 v[19:20], v[35:36], v[17:18]
	v_fma_f64 v[15:16], -v[15:16], v[19:20], v[35:36]
	s_delay_alu instid0(VALU_DEP_1) | instskip(NEXT) | instid1(VALU_DEP_1)
	v_div_fmas_f64 v[15:16], v[15:16], v[17:18], v[19:20]
	v_div_fixup_f64 v[15:16], v[15:16], v[2:3], v[0:1]
	s_delay_alu instid0(VALU_DEP_1) | instskip(NEXT) | instid1(VALU_DEP_1)
	v_fma_f64 v[17:18], v[0:1], v[15:16], v[2:3]
	v_div_scale_f64 v[19:20], null, v[17:18], v[17:18], 1.0
	v_div_scale_f64 v[39:40], vcc_lo, 1.0, v[17:18], 1.0
	s_delay_alu instid0(VALU_DEP_2) | instskip(SKIP_2) | instid1(VALU_DEP_1)
	v_rcp_f64_e32 v[35:36], v[19:20]
	s_waitcnt_depctr 0xfff
	v_fma_f64 v[37:38], -v[19:20], v[35:36], 1.0
	v_fma_f64 v[35:36], v[35:36], v[37:38], v[35:36]
	s_delay_alu instid0(VALU_DEP_1) | instskip(NEXT) | instid1(VALU_DEP_1)
	v_fma_f64 v[37:38], -v[19:20], v[35:36], 1.0
	v_fma_f64 v[35:36], v[35:36], v[37:38], v[35:36]
	s_delay_alu instid0(VALU_DEP_1) | instskip(NEXT) | instid1(VALU_DEP_1)
	v_mul_f64 v[37:38], v[39:40], v[35:36]
	v_fma_f64 v[19:20], -v[19:20], v[37:38], v[39:40]
	s_delay_alu instid0(VALU_DEP_1) | instskip(SKIP_2) | instid1(VALU_DEP_2)
	v_div_fmas_f64 v[19:20], v[19:20], v[35:36], v[37:38]
	s_waitcnt vmcnt(0)
	v_fma_f64 v[35:36], v[15:16], v[4:5], v[6:7]
	v_div_fixup_f64 v[17:18], v[19:20], v[17:18], 1.0
	v_fma_f64 v[19:20], v[15:16], v[6:7], -v[4:5]
	s_delay_alu instid0(VALU_DEP_2) | instskip(NEXT) | instid1(VALU_DEP_2)
	v_mul_f64 v[15:16], v[17:18], v[35:36]
	v_mul_f64 v[17:18], v[17:18], v[19:20]
	s_cbranch_execz .LBB7_205
	s_branch .LBB7_206
.LBB7_204:                              ;   in Loop: Header=BB7_6 Depth=1
                                        ; implicit-def: $vgpr15_vgpr16
                                        ; implicit-def: $vgpr17_vgpr18
.LBB7_205:                              ;   in Loop: Header=BB7_6 Depth=1
	v_div_scale_f64 v[15:16], null, v[0:1], v[0:1], v[2:3]
	v_div_scale_f64 v[35:36], vcc_lo, v[2:3], v[0:1], v[2:3]
	s_delay_alu instid0(VALU_DEP_2) | instskip(SKIP_2) | instid1(VALU_DEP_1)
	v_rcp_f64_e32 v[17:18], v[15:16]
	s_waitcnt_depctr 0xfff
	v_fma_f64 v[19:20], -v[15:16], v[17:18], 1.0
	v_fma_f64 v[17:18], v[17:18], v[19:20], v[17:18]
	s_delay_alu instid0(VALU_DEP_1) | instskip(NEXT) | instid1(VALU_DEP_1)
	v_fma_f64 v[19:20], -v[15:16], v[17:18], 1.0
	v_fma_f64 v[17:18], v[17:18], v[19:20], v[17:18]
	s_delay_alu instid0(VALU_DEP_1) | instskip(NEXT) | instid1(VALU_DEP_1)
	v_mul_f64 v[19:20], v[35:36], v[17:18]
	v_fma_f64 v[15:16], -v[15:16], v[19:20], v[35:36]
	s_delay_alu instid0(VALU_DEP_1) | instskip(NEXT) | instid1(VALU_DEP_1)
	v_div_fmas_f64 v[15:16], v[15:16], v[17:18], v[19:20]
	v_div_fixup_f64 v[15:16], v[15:16], v[0:1], v[2:3]
	s_delay_alu instid0(VALU_DEP_1) | instskip(NEXT) | instid1(VALU_DEP_1)
	v_fma_f64 v[17:18], v[2:3], v[15:16], v[0:1]
	v_div_scale_f64 v[19:20], null, v[17:18], v[17:18], 1.0
	v_div_scale_f64 v[39:40], vcc_lo, 1.0, v[17:18], 1.0
	s_delay_alu instid0(VALU_DEP_2) | instskip(SKIP_2) | instid1(VALU_DEP_1)
	v_rcp_f64_e32 v[35:36], v[19:20]
	s_waitcnt_depctr 0xfff
	v_fma_f64 v[37:38], -v[19:20], v[35:36], 1.0
	v_fma_f64 v[35:36], v[35:36], v[37:38], v[35:36]
	s_delay_alu instid0(VALU_DEP_1) | instskip(NEXT) | instid1(VALU_DEP_1)
	v_fma_f64 v[37:38], -v[19:20], v[35:36], 1.0
	v_fma_f64 v[35:36], v[35:36], v[37:38], v[35:36]
	s_delay_alu instid0(VALU_DEP_1) | instskip(NEXT) | instid1(VALU_DEP_1)
	v_mul_f64 v[37:38], v[39:40], v[35:36]
	v_fma_f64 v[19:20], -v[19:20], v[37:38], v[39:40]
	s_delay_alu instid0(VALU_DEP_1) | instskip(SKIP_3) | instid1(VALU_DEP_3)
	v_div_fmas_f64 v[19:20], v[19:20], v[35:36], v[37:38]
	s_waitcnt vmcnt(0)
	v_fma_f64 v[35:36], v[15:16], v[6:7], v[4:5]
	v_fma_f64 v[4:5], -v[15:16], v[4:5], v[6:7]
	v_div_fixup_f64 v[17:18], v[19:20], v[17:18], 1.0
	s_delay_alu instid0(VALU_DEP_1) | instskip(NEXT) | instid1(VALU_DEP_3)
	v_mul_f64 v[15:16], v[17:18], v[35:36]
	v_mul_f64 v[17:18], v[17:18], v[4:5]
.LBB7_206:                              ;   in Loop: Header=BB7_6 Depth=1
	s_waitcnt vmcnt(0)
	s_delay_alu instid0(VALU_DEP_1) | instskip(NEXT) | instid1(VALU_DEP_3)
	v_mul_f64 v[4:5], v[13:14], v[17:18]
	v_mul_f64 v[6:7], v[13:14], v[15:16]
	s_delay_alu instid0(VALU_DEP_2) | instskip(NEXT) | instid1(VALU_DEP_2)
	v_fma_f64 v[4:5], v[11:12], v[15:16], -v[4:5]
	v_fma_f64 v[6:7], v[11:12], v[17:18], v[6:7]
	s_delay_alu instid0(VALU_DEP_2) | instskip(NEXT) | instid1(VALU_DEP_2)
	v_add_f64 v[4:5], v[4:5], -1.0
	v_mul_f64 v[19:20], v[2:3], v[6:7]
	s_delay_alu instid0(VALU_DEP_2) | instskip(NEXT) | instid1(VALU_DEP_2)
	v_mul_f64 v[2:3], v[2:3], v[4:5]
	v_fma_f64 v[4:5], v[0:1], v[4:5], -v[19:20]
	s_delay_alu instid0(VALU_DEP_2) | instskip(NEXT) | instid1(VALU_DEP_2)
	v_fma_f64 v[6:7], v[0:1], v[6:7], v[2:3]
	v_cmp_gt_f64_e32 vcc_lo, 0, v[4:5]
	v_xor_b32_e32 v0, 0x80000000, v5
	s_delay_alu instid0(VALU_DEP_3) | instskip(SKIP_1) | instid1(VALU_DEP_3)
	v_cmp_gt_f64_e64 s5, 0, v[6:7]
	v_xor_b32_e32 v2, 0x80000000, v7
	v_cndmask_b32_e32 v1, v5, v0, vcc_lo
	v_cndmask_b32_e32 v0, v4, v4, vcc_lo
	s_delay_alu instid0(VALU_DEP_3) | instskip(SKIP_1) | instid1(VALU_DEP_1)
	v_cndmask_b32_e64 v3, v7, v2, s5
	v_cndmask_b32_e64 v2, v6, v6, s5
	v_cmp_ngt_f64_e32 vcc_lo, v[0:1], v[2:3]
	s_cbranch_vccz .LBB7_208
; %bb.207:                              ;   in Loop: Header=BB7_6 Depth=1
	v_div_scale_f64 v[0:1], null, v[6:7], v[6:7], v[4:5]
	v_div_scale_f64 v[35:36], vcc_lo, v[4:5], v[6:7], v[4:5]
	s_delay_alu instid0(VALU_DEP_2) | instskip(SKIP_2) | instid1(VALU_DEP_1)
	v_rcp_f64_e32 v[2:3], v[0:1]
	s_waitcnt_depctr 0xfff
	v_fma_f64 v[19:20], -v[0:1], v[2:3], 1.0
	v_fma_f64 v[2:3], v[2:3], v[19:20], v[2:3]
	s_delay_alu instid0(VALU_DEP_1) | instskip(NEXT) | instid1(VALU_DEP_1)
	v_fma_f64 v[19:20], -v[0:1], v[2:3], 1.0
	v_fma_f64 v[2:3], v[2:3], v[19:20], v[2:3]
	s_delay_alu instid0(VALU_DEP_1) | instskip(NEXT) | instid1(VALU_DEP_1)
	v_mul_f64 v[19:20], v[35:36], v[2:3]
	v_fma_f64 v[0:1], -v[0:1], v[19:20], v[35:36]
	s_delay_alu instid0(VALU_DEP_1) | instskip(NEXT) | instid1(VALU_DEP_1)
	v_div_fmas_f64 v[0:1], v[0:1], v[2:3], v[19:20]
	v_div_fixup_f64 v[0:1], v[0:1], v[6:7], v[4:5]
	s_delay_alu instid0(VALU_DEP_1) | instskip(NEXT) | instid1(VALU_DEP_1)
	v_fma_f64 v[2:3], v[4:5], v[0:1], v[6:7]
	v_div_scale_f64 v[19:20], null, v[2:3], v[2:3], 1.0
	v_div_scale_f64 v[39:40], vcc_lo, 1.0, v[2:3], 1.0
	s_delay_alu instid0(VALU_DEP_2) | instskip(SKIP_2) | instid1(VALU_DEP_1)
	v_rcp_f64_e32 v[35:36], v[19:20]
	s_waitcnt_depctr 0xfff
	v_fma_f64 v[37:38], -v[19:20], v[35:36], 1.0
	v_fma_f64 v[35:36], v[35:36], v[37:38], v[35:36]
	s_delay_alu instid0(VALU_DEP_1) | instskip(NEXT) | instid1(VALU_DEP_1)
	v_fma_f64 v[37:38], -v[19:20], v[35:36], 1.0
	v_fma_f64 v[35:36], v[35:36], v[37:38], v[35:36]
	s_delay_alu instid0(VALU_DEP_1) | instskip(NEXT) | instid1(VALU_DEP_1)
	v_mul_f64 v[37:38], v[39:40], v[35:36]
	v_fma_f64 v[19:20], -v[19:20], v[37:38], v[39:40]
	s_delay_alu instid0(VALU_DEP_1) | instskip(SKIP_1) | instid1(VALU_DEP_2)
	v_div_fmas_f64 v[19:20], v[19:20], v[35:36], v[37:38]
	v_add_f64 v[35:36], v[0:1], 0
	v_div_fixup_f64 v[2:3], v[19:20], v[2:3], 1.0
	v_fma_f64 v[19:20], v[0:1], 0, -1.0
	s_delay_alu instid0(VALU_DEP_2) | instskip(NEXT) | instid1(VALU_DEP_2)
	v_mul_f64 v[0:1], v[35:36], v[2:3]
	v_mul_f64 v[2:3], v[19:20], v[2:3]
	s_cbranch_execz .LBB7_209
	s_branch .LBB7_210
.LBB7_208:                              ;   in Loop: Header=BB7_6 Depth=1
                                        ; implicit-def: $vgpr0_vgpr1
                                        ; implicit-def: $vgpr2_vgpr3
.LBB7_209:                              ;   in Loop: Header=BB7_6 Depth=1
	v_div_scale_f64 v[0:1], null, v[4:5], v[4:5], v[6:7]
	v_div_scale_f64 v[35:36], vcc_lo, v[6:7], v[4:5], v[6:7]
	s_delay_alu instid0(VALU_DEP_2) | instskip(SKIP_2) | instid1(VALU_DEP_1)
	v_rcp_f64_e32 v[2:3], v[0:1]
	s_waitcnt_depctr 0xfff
	v_fma_f64 v[19:20], -v[0:1], v[2:3], 1.0
	v_fma_f64 v[2:3], v[2:3], v[19:20], v[2:3]
	s_delay_alu instid0(VALU_DEP_1) | instskip(NEXT) | instid1(VALU_DEP_1)
	v_fma_f64 v[19:20], -v[0:1], v[2:3], 1.0
	v_fma_f64 v[2:3], v[2:3], v[19:20], v[2:3]
	s_delay_alu instid0(VALU_DEP_1) | instskip(NEXT) | instid1(VALU_DEP_1)
	v_mul_f64 v[19:20], v[35:36], v[2:3]
	v_fma_f64 v[0:1], -v[0:1], v[19:20], v[35:36]
	s_delay_alu instid0(VALU_DEP_1) | instskip(NEXT) | instid1(VALU_DEP_1)
	v_div_fmas_f64 v[0:1], v[0:1], v[2:3], v[19:20]
	v_div_fixup_f64 v[0:1], v[0:1], v[4:5], v[6:7]
	s_delay_alu instid0(VALU_DEP_1) | instskip(NEXT) | instid1(VALU_DEP_1)
	v_fma_f64 v[2:3], v[6:7], v[0:1], v[4:5]
	v_div_scale_f64 v[4:5], null, v[2:3], v[2:3], 1.0
	v_div_scale_f64 v[35:36], vcc_lo, 1.0, v[2:3], 1.0
	s_delay_alu instid0(VALU_DEP_2) | instskip(SKIP_2) | instid1(VALU_DEP_1)
	v_rcp_f64_e32 v[6:7], v[4:5]
	s_waitcnt_depctr 0xfff
	v_fma_f64 v[19:20], -v[4:5], v[6:7], 1.0
	v_fma_f64 v[6:7], v[6:7], v[19:20], v[6:7]
	s_delay_alu instid0(VALU_DEP_1) | instskip(NEXT) | instid1(VALU_DEP_1)
	v_fma_f64 v[19:20], -v[4:5], v[6:7], 1.0
	v_fma_f64 v[6:7], v[6:7], v[19:20], v[6:7]
	s_delay_alu instid0(VALU_DEP_1) | instskip(NEXT) | instid1(VALU_DEP_1)
	v_mul_f64 v[19:20], v[35:36], v[6:7]
	v_fma_f64 v[4:5], -v[4:5], v[19:20], v[35:36]
	s_delay_alu instid0(VALU_DEP_1) | instskip(SKIP_1) | instid1(VALU_DEP_2)
	v_div_fmas_f64 v[4:5], v[4:5], v[6:7], v[19:20]
	v_fma_f64 v[6:7], v[0:1], 0, 1.0
	v_div_fixup_f64 v[2:3], v[4:5], v[2:3], 1.0
	v_add_f64 v[4:5], -v[0:1], 0
	s_delay_alu instid0(VALU_DEP_2) | instskip(NEXT) | instid1(VALU_DEP_2)
	v_mul_f64 v[0:1], v[6:7], v[2:3]
	v_mul_f64 v[2:3], v[4:5], v[2:3]
.LBB7_210:                              ;   in Loop: Header=BB7_6 Depth=1
	s_add_i32 s11, s10, -2
	s_mov_b32 s39, exec_lo
	v_cmpx_ge_i32_e64 s11, v8
	s_cbranch_execz .LBB7_213
; %bb.211:                              ;   in Loop: Header=BB7_6 Depth=1
	s_add_i32 s5, s10, -1
	v_add_nc_u32_e32 v4, s7, v8
	v_mad_u64_u32 v[6:7], null, s5, s21, v[8:9]
	v_mov_b32_e32 v9, v8
	v_add_nc_u32_e32 v19, s38, v8
	s_delay_alu instid0(VALU_DEP_4) | instskip(SKIP_2) | instid1(VALU_DEP_2)
	v_ashrrev_i32_e32 v5, 31, v4
	s_mul_i32 s7, s10, s21
	s_mov_b32 s40, 0
	v_ashrrev_i32_e32 v20, 31, v19
	v_ashrrev_i32_e32 v7, 31, v6
	v_lshlrev_b64 v[4:5], 4, v[4:5]
	s_delay_alu instid0(VALU_DEP_3) | instskip(NEXT) | instid1(VALU_DEP_3)
	v_lshlrev_b64 v[19:20], 4, v[19:20]
	v_lshlrev_b64 v[6:7], 4, v[6:7]
	s_delay_alu instid0(VALU_DEP_3) | instskip(NEXT) | instid1(VALU_DEP_4)
	v_add_co_u32 v4, vcc_lo, s65, v4
	v_add_co_ci_u32_e32 v5, vcc_lo, s66, v5, vcc_lo
	s_delay_alu instid0(VALU_DEP_3) | instskip(NEXT) | instid1(VALU_DEP_4)
	v_add_co_u32 v6, vcc_lo, s63, v6
	v_add_co_ci_u32_e32 v7, vcc_lo, s64, v7, vcc_lo
	v_add_co_u32 v19, vcc_lo, s65, v19
	v_add_co_ci_u32_e32 v20, vcc_lo, s66, v20, vcc_lo
.LBB7_212:                              ;   Parent Loop BB7_6 Depth=1
                                        ; =>  This Inner Loop Header: Depth=2
	global_load_b128 v[35:38], v[4:5], off offset:-8
	global_load_b128 v[39:42], v[19:20], off offset:-8
	s_waitcnt vmcnt(1)
	v_mul_f64 v[43:44], v[11:12], v[37:38]
	v_mul_f64 v[37:38], v[13:14], v[37:38]
	s_delay_alu instid0(VALU_DEP_2) | instskip(NEXT) | instid1(VALU_DEP_2)
	v_fma_f64 v[43:44], v[13:14], v[35:36], v[43:44]
	v_fma_f64 v[35:36], v[11:12], v[35:36], -v[37:38]
	s_waitcnt vmcnt(0)
	s_delay_alu instid0(VALU_DEP_2) | instskip(NEXT) | instid1(VALU_DEP_2)
	v_add_f64 v[37:38], v[43:44], -v[41:42]
	v_add_f64 v[35:36], v[35:36], -v[39:40]
	s_delay_alu instid0(VALU_DEP_2) | instskip(NEXT) | instid1(VALU_DEP_2)
	v_mul_f64 v[39:40], v[2:3], v[37:38]
	v_mul_f64 v[41:42], v[2:3], v[35:36]
	s_delay_alu instid0(VALU_DEP_2) | instskip(NEXT) | instid1(VALU_DEP_2)
	v_fma_f64 v[35:36], v[0:1], v[35:36], -v[39:40]
	v_fma_f64 v[37:38], v[0:1], v[37:38], v[41:42]
	global_store_b128 v[6:7], v[35:38], off offset:-8
	global_load_b128 v[35:38], v[19:20], off offset:-8
	global_load_b128 v[39:42], v[4:5], off offset:-8
	s_waitcnt vmcnt(1)
	v_mul_f64 v[43:44], v[15:16], v[37:38]
	v_mul_f64 v[37:38], v[17:18], v[37:38]
	s_delay_alu instid0(VALU_DEP_2) | instskip(NEXT) | instid1(VALU_DEP_2)
	v_fma_f64 v[43:44], v[17:18], v[35:36], v[43:44]
	v_fma_f64 v[35:36], v[15:16], v[35:36], -v[37:38]
	s_waitcnt vmcnt(0)
	s_delay_alu instid0(VALU_DEP_2) | instskip(NEXT) | instid1(VALU_DEP_2)
	v_add_f64 v[37:38], v[43:44], -v[41:42]
	v_add_f64 v[35:36], v[35:36], -v[39:40]
	s_delay_alu instid0(VALU_DEP_2) | instskip(NEXT) | instid1(VALU_DEP_2)
	v_mul_f64 v[39:40], v[2:3], v[37:38]
	v_mul_f64 v[41:42], v[2:3], v[35:36]
	s_delay_alu instid0(VALU_DEP_2) | instskip(NEXT) | instid1(VALU_DEP_2)
	v_fma_f64 v[35:36], v[0:1], v[35:36], -v[39:40]
	v_fma_f64 v[37:38], v[0:1], v[37:38], v[41:42]
	v_add_nc_u32_e32 v39, s7, v9
	v_add_nc_u32_e32 v9, 0x100, v9
	s_delay_alu instid0(VALU_DEP_2) | instskip(NEXT) | instid1(VALU_DEP_2)
	v_ashrrev_i32_e32 v40, 31, v39
	v_cmp_lt_i32_e32 vcc_lo, s11, v9
	s_delay_alu instid0(VALU_DEP_2) | instskip(SKIP_1) | instid1(VALU_DEP_1)
	v_lshlrev_b64 v[39:40], 4, v[39:40]
	s_or_b32 s40, vcc_lo, s40
	v_add_co_u32 v39, s5, s20, v39
	s_delay_alu instid0(VALU_DEP_1) | instskip(SKIP_1) | instid1(VALU_DEP_1)
	v_add_co_ci_u32_e64 v40, s5, s33, v40, s5
	v_add_co_u32 v6, s5, 0x1000, v6
	v_add_co_ci_u32_e64 v7, s5, 0, v7, s5
	v_add_co_u32 v4, s5, 0x1000, v4
	s_delay_alu instid0(VALU_DEP_1) | instskip(SKIP_1) | instid1(VALU_DEP_1)
	v_add_co_ci_u32_e64 v5, s5, 0, v5, s5
	v_add_co_u32 v19, s5, 0x1000, v19
	v_add_co_ci_u32_e64 v20, s5, 0, v20, s5
	global_store_b128 v[39:40], v[35:38], off
	s_and_not1_b32 exec_lo, exec_lo, s40
	s_cbranch_execnz .LBB7_212
.LBB7_213:                              ;   in Loop: Header=BB7_6 Depth=1
	s_or_b32 exec_lo, exec_lo, s39
.LBB7_214:                              ;   in Loop: Header=BB7_6 Depth=1
	s_and_saveexec_b32 s5, s4
	s_cbranch_execz .LBB7_216
; %bb.215:                              ;   in Loop: Header=BB7_6 Depth=1
	s_add_i32 s7, s71, -1
	s_add_i32 s11, s10, -1
	s_mul_i32 s7, s7, s22
	s_ashr_i32 s71, s10, 31
	s_ashr_i32 s39, s7, 31
	s_add_u32 s40, s7, s10
	s_addc_u32 s41, s39, s71
	s_delay_alu instid0(SALU_CYCLE_1) | instskip(NEXT) | instid1(SALU_CYCLE_1)
	s_lshl_b64 s[40:41], s[40:41], 4
	s_add_u32 s40, s55, s40
	s_addc_u32 s41, s56, s41
	global_load_b128 v[0:3], v10, s[40:41]
	s_mul_i32 s40, s11, s49
	s_delay_alu instid0(SALU_CYCLE_1) | instskip(NEXT) | instid1(SALU_CYCLE_1)
	s_ashr_i32 s41, s40, 31
	s_lshl_b64 s[40:41], s[40:41], 4
	s_delay_alu instid0(SALU_CYCLE_1)
	s_add_u32 s40, s20, s40
	s_addc_u32 s41, s33, s41
	s_ashr_i32 s7, s38, 31
	s_add_u32 s72, s38, s10
	s_addc_u32 s73, s7, s71
	s_mul_i32 s7, s10, s21
	s_lshl_b64 s[72:73], s[72:73], 4
	s_delay_alu instid0(SALU_CYCLE_1)
	s_add_u32 s72, s55, s72
	s_addc_u32 s73, s56, s73
	s_ashr_i32 s11, s7, 31
	s_waitcnt vmcnt(0)
	global_store_b128 v10, v[0:3], s[40:41]
	global_load_b128 v[0:3], v10, s[72:73]
	s_add_u32 s40, s10, s7
	s_addc_u32 s41, s71, s11
	s_delay_alu instid0(SALU_CYCLE_1) | instskip(NEXT) | instid1(SALU_CYCLE_1)
	s_lshl_b64 s[40:41], s[40:41], 4
	s_add_u32 s40, s57, s40
	s_addc_u32 s41, s58, s41
	s_add_i32 s72, s38, s10
	s_delay_alu instid0(SALU_CYCLE_1) | instskip(NEXT) | instid1(SALU_CYCLE_1)
	s_ashr_i32 s73, s72, 31
	s_lshl_b64 s[72:73], s[72:73], 4
	s_delay_alu instid0(SALU_CYCLE_1)
	s_add_u32 s72, s45, s72
	s_addc_u32 s73, s46, s73
	s_waitcnt vmcnt(0)
	global_store_b128 v10, v[0:3], s[40:41]
	global_load_b128 v[0:3], v10, s[72:73]
	s_add_i32 s40, s7, s10
	s_delay_alu instid0(SALU_CYCLE_1) | instskip(NEXT) | instid1(SALU_CYCLE_1)
	s_ashr_i32 s41, s40, 31
	s_lshl_b64 s[40:41], s[40:41], 4
	s_delay_alu instid0(SALU_CYCLE_1)
	s_add_u32 s40, s20, s40
	s_addc_u32 s41, s33, s41
	s_waitcnt vmcnt(0)
	global_store_b128 v10, v[0:3], s[40:41]
.LBB7_216:                              ;   in Loop: Header=BB7_6 Depth=1
	s_or_b32 exec_lo, exec_lo, s5
	s_mov_b32 s7, 0
	s_mov_b32 s5, -2
	s_waitcnt_vscnt null, 0x0
	s_barrier
	buffer_gl0_inv
	s_branch .LBB7_194
.LBB7_217:                              ;   in Loop: Header=BB7_6 Depth=1
	s_add_i32 s40, s38, s10
	s_delay_alu instid0(SALU_CYCLE_1) | instskip(NEXT) | instid1(SALU_CYCLE_1)
	s_ashr_i32 s41, s40, 31
	s_lshl_b64 s[40:41], s[40:41], 4
	s_delay_alu instid0(SALU_CYCLE_1)
	s_add_u32 s40, s45, s40
	s_addc_u32 s41, s46, s41
	global_load_b128 v[0:3], v10, s[40:41]
	s_waitcnt vmcnt(0)
	v_cmp_gt_f64_e32 vcc_lo, 0, v[0:1]
	v_xor_b32_e32 v5, 0x80000000, v1
	v_mov_b32_e32 v4, v0
	v_xor_b32_e32 v6, 0x80000000, v3
	s_delay_alu instid0(VALU_DEP_3) | instskip(SKIP_1) | instid1(VALU_DEP_3)
	v_cndmask_b32_e32 v5, v1, v5, vcc_lo
	v_cmp_gt_f64_e32 vcc_lo, 0, v[2:3]
	v_dual_cndmask_b32 v7, v3, v6 :: v_dual_mov_b32 v6, v2
	s_delay_alu instid0(VALU_DEP_1)
	v_cmp_ngt_f64_e32 vcc_lo, v[4:5], v[6:7]
	s_cbranch_vccz .LBB7_219
; %bb.218:                              ;   in Loop: Header=BB7_6 Depth=1
	v_div_scale_f64 v[4:5], null, v[2:3], v[2:3], v[0:1]
	v_div_scale_f64 v[13:14], vcc_lo, v[0:1], v[2:3], v[0:1]
	s_delay_alu instid0(VALU_DEP_2) | instskip(SKIP_2) | instid1(VALU_DEP_1)
	v_rcp_f64_e32 v[6:7], v[4:5]
	s_waitcnt_depctr 0xfff
	v_fma_f64 v[11:12], -v[4:5], v[6:7], 1.0
	v_fma_f64 v[6:7], v[6:7], v[11:12], v[6:7]
	s_delay_alu instid0(VALU_DEP_1) | instskip(NEXT) | instid1(VALU_DEP_1)
	v_fma_f64 v[11:12], -v[4:5], v[6:7], 1.0
	v_fma_f64 v[6:7], v[6:7], v[11:12], v[6:7]
	s_delay_alu instid0(VALU_DEP_1) | instskip(NEXT) | instid1(VALU_DEP_1)
	v_mul_f64 v[11:12], v[13:14], v[6:7]
	v_fma_f64 v[4:5], -v[4:5], v[11:12], v[13:14]
	s_delay_alu instid0(VALU_DEP_1) | instskip(NEXT) | instid1(VALU_DEP_1)
	v_div_fmas_f64 v[4:5], v[4:5], v[6:7], v[11:12]
	v_div_fixup_f64 v[4:5], v[4:5], v[2:3], v[0:1]
	s_delay_alu instid0(VALU_DEP_1) | instskip(NEXT) | instid1(VALU_DEP_1)
	v_fma_f64 v[6:7], v[0:1], v[4:5], v[2:3]
	v_div_scale_f64 v[11:12], null, v[6:7], v[6:7], 1.0
	v_div_scale_f64 v[17:18], vcc_lo, 1.0, v[6:7], 1.0
	s_delay_alu instid0(VALU_DEP_2) | instskip(SKIP_2) | instid1(VALU_DEP_1)
	v_rcp_f64_e32 v[13:14], v[11:12]
	s_waitcnt_depctr 0xfff
	v_fma_f64 v[15:16], -v[11:12], v[13:14], 1.0
	v_fma_f64 v[13:14], v[13:14], v[15:16], v[13:14]
	s_delay_alu instid0(VALU_DEP_1) | instskip(NEXT) | instid1(VALU_DEP_1)
	v_fma_f64 v[15:16], -v[11:12], v[13:14], 1.0
	v_fma_f64 v[13:14], v[13:14], v[15:16], v[13:14]
	s_delay_alu instid0(VALU_DEP_1) | instskip(NEXT) | instid1(VALU_DEP_1)
	v_mul_f64 v[15:16], v[17:18], v[13:14]
	v_fma_f64 v[11:12], -v[11:12], v[15:16], v[17:18]
	s_delay_alu instid0(VALU_DEP_1) | instskip(SKIP_1) | instid1(VALU_DEP_2)
	v_div_fmas_f64 v[11:12], v[11:12], v[13:14], v[15:16]
	v_add_f64 v[13:14], v[4:5], 0
	v_div_fixup_f64 v[6:7], v[11:12], v[6:7], 1.0
	v_fma_f64 v[11:12], v[4:5], 0, -1.0
	s_delay_alu instid0(VALU_DEP_2) | instskip(NEXT) | instid1(VALU_DEP_2)
	v_mul_f64 v[4:5], v[13:14], v[6:7]
	v_mul_f64 v[6:7], v[11:12], v[6:7]
	s_cbranch_execz .LBB7_220
	s_branch .LBB7_221
.LBB7_219:                              ;   in Loop: Header=BB7_6 Depth=1
                                        ; implicit-def: $vgpr4_vgpr5
                                        ; implicit-def: $vgpr6_vgpr7
.LBB7_220:                              ;   in Loop: Header=BB7_6 Depth=1
	v_div_scale_f64 v[4:5], null, v[0:1], v[0:1], v[2:3]
	v_div_scale_f64 v[13:14], vcc_lo, v[2:3], v[0:1], v[2:3]
	s_delay_alu instid0(VALU_DEP_2) | instskip(SKIP_2) | instid1(VALU_DEP_1)
	v_rcp_f64_e32 v[6:7], v[4:5]
	s_waitcnt_depctr 0xfff
	v_fma_f64 v[11:12], -v[4:5], v[6:7], 1.0
	v_fma_f64 v[6:7], v[6:7], v[11:12], v[6:7]
	s_delay_alu instid0(VALU_DEP_1) | instskip(NEXT) | instid1(VALU_DEP_1)
	v_fma_f64 v[11:12], -v[4:5], v[6:7], 1.0
	v_fma_f64 v[6:7], v[6:7], v[11:12], v[6:7]
	s_delay_alu instid0(VALU_DEP_1) | instskip(NEXT) | instid1(VALU_DEP_1)
	v_mul_f64 v[11:12], v[13:14], v[6:7]
	v_fma_f64 v[4:5], -v[4:5], v[11:12], v[13:14]
	s_delay_alu instid0(VALU_DEP_1) | instskip(NEXT) | instid1(VALU_DEP_1)
	v_div_fmas_f64 v[4:5], v[4:5], v[6:7], v[11:12]
	v_div_fixup_f64 v[4:5], v[4:5], v[0:1], v[2:3]
	s_delay_alu instid0(VALU_DEP_1) | instskip(NEXT) | instid1(VALU_DEP_1)
	v_fma_f64 v[0:1], v[2:3], v[4:5], v[0:1]
	v_div_scale_f64 v[2:3], null, v[0:1], v[0:1], 1.0
	v_div_scale_f64 v[13:14], vcc_lo, 1.0, v[0:1], 1.0
	s_delay_alu instid0(VALU_DEP_2) | instskip(SKIP_2) | instid1(VALU_DEP_1)
	v_rcp_f64_e32 v[6:7], v[2:3]
	s_waitcnt_depctr 0xfff
	v_fma_f64 v[11:12], -v[2:3], v[6:7], 1.0
	v_fma_f64 v[6:7], v[6:7], v[11:12], v[6:7]
	s_delay_alu instid0(VALU_DEP_1) | instskip(NEXT) | instid1(VALU_DEP_1)
	v_fma_f64 v[11:12], -v[2:3], v[6:7], 1.0
	v_fma_f64 v[6:7], v[6:7], v[11:12], v[6:7]
	s_delay_alu instid0(VALU_DEP_1) | instskip(NEXT) | instid1(VALU_DEP_1)
	v_mul_f64 v[11:12], v[13:14], v[6:7]
	v_fma_f64 v[2:3], -v[2:3], v[11:12], v[13:14]
	s_delay_alu instid0(VALU_DEP_1) | instskip(SKIP_1) | instid1(VALU_DEP_2)
	v_div_fmas_f64 v[2:3], v[2:3], v[6:7], v[11:12]
	v_fma_f64 v[6:7], v[4:5], 0, 1.0
	v_div_fixup_f64 v[0:1], v[2:3], v[0:1], 1.0
	v_add_f64 v[2:3], -v[4:5], 0
	s_delay_alu instid0(VALU_DEP_2) | instskip(NEXT) | instid1(VALU_DEP_2)
	v_mul_f64 v[4:5], v[6:7], v[0:1]
	v_mul_f64 v[6:7], v[2:3], v[0:1]
.LBB7_221:                              ;   in Loop: Header=BB7_6 Depth=1
	s_and_saveexec_b32 s5, s4
	s_cbranch_execnz .LBB7_223
; %bb.222:                              ;   in Loop: Header=BB7_6 Depth=1
	s_or_b32 exec_lo, exec_lo, s5
	s_and_saveexec_b32 s5, s3
	s_cbranch_execnz .LBB7_224
	s_branch .LBB7_226
.LBB7_223:                              ;   in Loop: Header=BB7_6 Depth=1
	global_load_b128 v[0:3], v10, s[40:41]
	s_mul_i32 s40, s10, s49
	s_delay_alu instid0(SALU_CYCLE_1) | instskip(NEXT) | instid1(SALU_CYCLE_1)
	s_ashr_i32 s41, s40, 31
	s_lshl_b64 s[40:41], s[40:41], 4
	s_delay_alu instid0(SALU_CYCLE_1)
	s_add_u32 s40, s20, s40
	s_addc_u32 s41, s33, s41
	s_waitcnt vmcnt(0)
	global_store_b128 v10, v[0:3], s[40:41]
	s_or_b32 exec_lo, exec_lo, s5
	s_and_saveexec_b32 s5, s3
	s_cbranch_execz .LBB7_226
.LBB7_224:                              ;   in Loop: Header=BB7_6 Depth=1
	v_add_nc_u32_e32 v0, s38, v8
	v_mad_u64_u32 v[2:3], null, s10, s21, v[8:9]
	v_mov_b32_e32 v9, v8
	s_mov_b32 s7, 0
	s_delay_alu instid0(VALU_DEP_3) | instskip(NEXT) | instid1(VALU_DEP_3)
	v_ashrrev_i32_e32 v1, 31, v0
	v_ashrrev_i32_e32 v3, 31, v2
	s_delay_alu instid0(VALU_DEP_2) | instskip(NEXT) | instid1(VALU_DEP_2)
	v_lshlrev_b64 v[0:1], 4, v[0:1]
	v_lshlrev_b64 v[2:3], 4, v[2:3]
	s_delay_alu instid0(VALU_DEP_2) | instskip(NEXT) | instid1(VALU_DEP_3)
	v_add_co_u32 v0, vcc_lo, s65, v0
	v_add_co_ci_u32_e32 v1, vcc_lo, s66, v1, vcc_lo
	s_delay_alu instid0(VALU_DEP_3) | instskip(NEXT) | instid1(VALU_DEP_4)
	v_add_co_u32 v2, vcc_lo, s63, v2
	v_add_co_ci_u32_e32 v3, vcc_lo, s64, v3, vcc_lo
	.p2align	6
.LBB7_225:                              ;   Parent Loop BB7_6 Depth=1
                                        ; =>  This Inner Loop Header: Depth=2
	global_load_b128 v[11:14], v[0:1], off offset:-8
	v_add_nc_u32_e32 v9, 0x100, v9
	v_add_co_u32 v0, vcc_lo, 0x1000, v0
	v_add_co_ci_u32_e32 v1, vcc_lo, 0, v1, vcc_lo
	s_delay_alu instid0(VALU_DEP_3) | instskip(SKIP_4) | instid1(VALU_DEP_2)
	v_cmp_le_i32_e32 vcc_lo, s10, v9
	s_or_b32 s7, vcc_lo, s7
	s_waitcnt vmcnt(0)
	v_mul_f64 v[15:16], v[6:7], v[13:14]
	v_mul_f64 v[17:18], v[4:5], v[13:14]
	v_fma_f64 v[13:14], v[4:5], v[11:12], -v[15:16]
	s_delay_alu instid0(VALU_DEP_2) | instskip(SKIP_2) | instid1(VALU_DEP_1)
	v_fma_f64 v[15:16], v[6:7], v[11:12], v[17:18]
	global_store_b128 v[2:3], v[13:16], off offset:-8
	v_add_co_u32 v2, s3, 0x1000, v2
	v_add_co_ci_u32_e64 v3, s3, 0, v3, s3
	s_and_not1_b32 exec_lo, exec_lo, s7
	s_cbranch_execnz .LBB7_225
.LBB7_226:                              ;   in Loop: Header=BB7_6 Depth=1
	s_or_b32 exec_lo, exec_lo, s5
	s_mov_b32 s7, -1
	s_mov_b32 s5, -1
	s_waitcnt_vscnt null, 0x0
	s_barrier
	buffer_gl0_inv
	s_branch .LBB7_195
.LBB7_227:                              ;   in Loop: Header=BB7_6 Depth=1
	ds_load_b32 v0, v10 offset:3100
	s_waitcnt lgkmcnt(0)
	v_readfirstlane_b32 s3, v0
	s_delay_alu instid0(VALU_DEP_1) | instskip(SKIP_1) | instid1(SALU_CYCLE_1)
	s_cmp_eq_u32 s3, 0
	s_cselect_b32 s3, -1, 0
	s_and_b32 s5, s4, s3
	s_delay_alu instid0(SALU_CYCLE_1)
	s_and_saveexec_b32 s3, s5
	s_cbranch_execz .LBB7_229
; %bb.228:                              ;   in Loop: Header=BB7_6 Depth=1
	s_add_i32 s5, s10, 1
	s_delay_alu instid0(SALU_CYCLE_1)
	v_mov_b32_e32 v0, s5
	ds_store_b32 v10, v0 offset:3100
.LBB7_229:                              ;   in Loop: Header=BB7_6 Depth=1
	s_or_b32 exec_lo, exec_lo, s3
	s_mov_b32 s5, -1
	s_mov_b32 s7, -1
	s_mov_b32 s6, s10
	s_and_saveexec_b32 s3, s4
	s_cbranch_execz .LBB7_4
.LBB7_230:                              ;   in Loop: Header=BB7_6 Depth=1
	s_mov_b32 s11, s69
	s_xor_b32 s7, s7, -1
	s_lshl_b64 s[38:39], s[10:11], 2
	s_delay_alu instid0(SALU_CYCLE_1)
	s_add_u32 s38, s42, s38
	s_addc_u32 s39, s43, s39
	s_and_b32 vcc_lo, exec_lo, s7
	s_mov_b32 s7, -1
	s_cbranch_vccz .LBB7_232
; %bb.231:                              ;   in Loop: Header=BB7_6 Depth=1
	s_not_b32 s7, s6
	s_delay_alu instid0(SALU_CYCLE_1)
	v_dual_mov_b32 v0, s7 :: v_dual_mov_b32 v1, s7
	s_mov_b32 s7, 0
	global_store_b64 v10, v[0:1], s[38:39] offset:-4
.LBB7_232:                              ;   in Loop: Header=BB7_6 Depth=1
	s_and_not1_b32 vcc_lo, exec_lo, s7
	s_cbranch_vccnz .LBB7_4
; %bb.233:                              ;   in Loop: Header=BB7_6 Depth=1
	s_add_i32 s6, s6, 1
	s_delay_alu instid0(SALU_CYCLE_1)
	v_mov_b32_e32 v0, s6
	global_store_b32 v10, v0, s[38:39]
	s_branch .LBB7_4
.LBB7_234:
	s_add_i32 s0, s71, 1
.LBB7_235:
	s_and_saveexec_b32 s1, s4
	s_cbranch_execz .LBB7_237
; %bb.236:
	v_mov_b32_e32 v0, 0
	s_lshl_b64 s[2:3], s[26:27], 2
	s_delay_alu instid0(SALU_CYCLE_1)
	s_add_u32 s4, s16, s2
	s_addc_u32 s5, s17, s3
	ds_load_b32 v1, v0 offset:3100
	s_add_u32 s2, s14, s2
	s_addc_u32 s3, s15, s3
	s_not_b32 s6, s10
	s_delay_alu instid0(SALU_CYCLE_1) | instskip(NEXT) | instid1(SALU_CYCLE_1)
	s_add_i32 s6, s6, s22
	v_mov_b32_e32 v2, s6
	global_store_b32 v0, v2, s[4:5]
	s_waitcnt lgkmcnt(0)
	global_store_b32 v0, v1, s[2:3]
.LBB7_237:
	s_or_b32 exec_lo, exec_lo, s1
	s_abs_i32 s1, s23
	s_abs_i32 s4, s10
	v_cvt_f32_u32_e32 v0, s1
	s_sub_i32 s3, 0, s1
	s_mov_b32 s5, 0
	s_delay_alu instid0(VALU_DEP_1) | instskip(SKIP_2) | instid1(VALU_DEP_1)
	v_rcp_iflag_f32_e32 v0, v0
	s_waitcnt_depctr 0xfff
	v_mul_f32_e32 v0, 0x4f7ffffe, v0
	v_cvt_u32_f32_e32 v0, v0
	s_delay_alu instid0(VALU_DEP_1) | instskip(NEXT) | instid1(VALU_DEP_1)
	v_readfirstlane_b32 s2, v0
	s_mul_i32 s3, s3, s2
	s_delay_alu instid0(SALU_CYCLE_1) | instskip(NEXT) | instid1(SALU_CYCLE_1)
	s_mul_hi_u32 s3, s2, s3
	s_add_i32 s2, s2, s3
	s_ashr_i32 s3, s10, 31
	s_mul_hi_u32 s2, s4, s2
	s_delay_alu instid0(SALU_CYCLE_1) | instskip(NEXT) | instid1(SALU_CYCLE_1)
	s_mul_i32 s2, s2, s1
	s_sub_i32 s2, s4, s2
	s_delay_alu instid0(SALU_CYCLE_1) | instskip(SKIP_2) | instid1(SALU_CYCLE_1)
	s_sub_i32 s4, s2, s1
	s_cmp_ge_u32 s2, s1
	s_cselect_b32 s2, s4, s2
	s_sub_i32 s4, s2, s1
	s_cmp_ge_u32 s2, s1
	s_cselect_b32 s1, s4, s2
	s_add_i32 s2, s10, 1
	s_xor_b32 s1, s1, s3
	s_delay_alu instid0(SALU_CYCLE_1) | instskip(NEXT) | instid1(SALU_CYCLE_1)
	s_sub_i32 s1, s3, s1
	s_add_i32 s4, s10, s1
	s_delay_alu instid0(SALU_CYCLE_1)
	s_cmp_lt_i32 s4, 0
	s_cbranch_scc1 .LBB7_255
; %bb.238:
	s_mul_i32 s0, s0, s22
	s_not_b32 s3, s10
	s_ashr_i32 s1, s0, 31
	s_mul_i32 s6, s2, s21
	s_lshl_b64 s[0:1], s[0:1], 4
	s_add_i32 s3, s3, s22
	s_ashr_i32 s7, s6, 31
	s_add_u32 s12, s45, s0
	s_addc_u32 s13, s46, s1
	s_cmp_gt_i32 s3, 0
	v_mov_b32_e32 v1, 0
	s_cselect_b32 s14, -1, 0
	s_lshl_b64 s[6:7], s[6:7], 4
	s_delay_alu instid0(SALU_CYCLE_1)
	s_add_u32 s15, s20, s6
	s_addc_u32 s16, s33, s7
	s_add_u32 s10, s28, s30
	s_addc_u32 s11, s29, s31
	;; [unrolled: 2-line block ×4, first 2 shown]
	v_add_co_u32 v0, s6, s6, v23
	s_delay_alu instid0(VALU_DEP_1) | instskip(SKIP_2) | instid1(VALU_DEP_2)
	v_add_co_ci_u32_e64 v2, null, s7, 0, s6
	s_ashr_i32 s7, s21, 31
	s_mov_b32 s6, s21
	v_add_co_u32 v13, vcc_lo, v0, 8
	s_lshl_b64 s[6:7], s[6:7], 4
	s_add_u32 s0, s8, s0
	s_addc_u32 s1, s9, s1
	s_add_u32 s0, s0, s24
	s_addc_u32 s1, s1, s25
	v_add_co_ci_u32_e32 v14, vcc_lo, 0, v2, vcc_lo
	s_add_u32 s17, s0, 8
	s_addc_u32 s18, s1, 0
	s_ashr_i32 s1, s22, 31
	s_mov_b32 s0, s22
	s_delay_alu instid0(SALU_CYCLE_1)
	s_lshl_b64 s[8:9], s[0:1], 4
	s_branch .LBB7_240
.LBB7_239:                              ;   in Loop: Header=BB7_240 Depth=1
	s_or_b32 exec_lo, exec_lo, s1
	s_sub_i32 s4, s4, s23
	s_delay_alu instid0(SALU_CYCLE_1)
	s_cmp_gt_i32 s4, -1
	s_cbranch_scc0 .LBB7_255
.LBB7_240:                              ; =>This Loop Header: Depth=1
                                        ;     Child Loop BB7_243 Depth 2
                                        ;       Child Loop BB7_246 Depth 3
                                        ;         Child Loop BB7_248 Depth 4
                                        ;     Child Loop BB7_252 Depth 2
                                        ;       Child Loop BB7_254 Depth 3
	s_sub_i32 s0, s2, s4
	s_delay_alu instid0(SALU_CYCLE_1) | instskip(NEXT) | instid1(SALU_CYCLE_1)
	s_min_i32 s19, s0, s23
	s_cmp_lt_i32 s19, 1
	s_cbranch_scc1 .LBB7_249
; %bb.241:                              ;   in Loop: Header=BB7_240 Depth=1
	s_lshl_b64 s[0:1], s[4:5], 4
	s_mov_b32 s27, s4
	v_add_co_u32 v2, vcc_lo, v13, s0
	v_add_co_ci_u32_e32 v3, vcc_lo, s1, v14, vcc_lo
	s_add_u32 s10, s17, s0
	s_addc_u32 s11, s18, s1
	s_add_i32 s24, s19, s4
	s_add_u32 s25, s20, s0
	s_addc_u32 s26, s33, s1
	s_branch .LBB7_243
.LBB7_242:                              ;   in Loop: Header=BB7_243 Depth=2
	s_or_b32 exec_lo, exec_lo, s29
	s_add_i32 s27, s27, 1
	s_add_u32 s10, s10, 16
	s_addc_u32 s11, s11, 0
	s_cmp_lt_i32 s27, s24
	s_cbranch_scc0 .LBB7_249
.LBB7_243:                              ;   Parent Loop BB7_240 Depth=1
                                        ; =>  This Loop Header: Depth=2
                                        ;       Child Loop BB7_246 Depth 3
                                        ;         Child Loop BB7_248 Depth 4
	s_sub_i32 s28, s27, s4
	s_mov_b32 s29, exec_lo
	v_cmpx_ge_i32_e64 s28, v8
	s_cbranch_execz .LBB7_242
; %bb.244:                              ;   in Loop: Header=BB7_243 Depth=2
	s_mul_i32 s0, s27, s21
	v_dual_mov_b32 v5, v3 :: v_dual_mov_b32 v4, v2
	s_ashr_i32 s1, s0, 31
	v_mov_b32_e32 v0, v8
	s_lshl_b64 s[0:1], s[0:1], 4
	s_mov_b32 s34, 0
	s_add_u32 s30, s25, s0
	s_addc_u32 s31, s26, s1
	s_branch .LBB7_246
.LBB7_245:                              ;   in Loop: Header=BB7_246 Depth=3
	v_lshlrev_b64 v[11:12], 4, v[0:1]
	v_add_nc_u32_e32 v0, 0x100, v0
	v_add_co_u32 v4, s0, 0x1000, v4
	s_delay_alu instid0(VALU_DEP_1) | instskip(NEXT) | instid1(VALU_DEP_4)
	v_add_co_ci_u32_e64 v5, s0, 0, v5, s0
	v_add_co_u32 v19, vcc_lo, s30, v11
	v_add_co_ci_u32_e32 v20, vcc_lo, s31, v12, vcc_lo
	v_fma_f64 v[11:12], 0x80000000, v[6:7], -v[9:10]
	v_fma_f64 v[6:7], v[9:10], 0, -v[6:7]
	v_cmp_lt_i32_e32 vcc_lo, s28, v0
	global_load_b128 v[15:18], v[19:20], off
	s_or_b32 s34, vcc_lo, s34
	s_waitcnt vmcnt(0)
	v_fma_f64 v[9:10], 0x80000000, v[17:18], v[15:16]
	v_fma_f64 v[15:16], v[15:16], 0, v[17:18]
	s_delay_alu instid0(VALU_DEP_2) | instskip(NEXT) | instid1(VALU_DEP_2)
	v_add_f64 v[9:10], v[11:12], v[9:10]
	v_add_f64 v[11:12], v[6:7], v[15:16]
	global_store_b128 v[19:20], v[9:12], off
	s_and_not1_b32 exec_lo, exec_lo, s34
	s_cbranch_execz .LBB7_242
.LBB7_246:                              ;   Parent Loop BB7_240 Depth=1
                                        ;     Parent Loop BB7_243 Depth=2
                                        ; =>    This Loop Header: Depth=3
                                        ;         Child Loop BB7_248 Depth 4
	v_mov_b32_e32 v6, 0
	v_mov_b32_e32 v7, 0
	s_and_not1_b32 vcc_lo, exec_lo, s14
	s_delay_alu instid0(VALU_DEP_1)
	v_dual_mov_b32 v10, v7 :: v_dual_mov_b32 v9, v6
	s_cbranch_vccnz .LBB7_245
; %bb.247:                              ;   in Loop: Header=BB7_246 Depth=3
	v_mov_b32_e32 v6, 0
	v_dual_mov_b32 v7, 0 :: v_dual_mov_b32 v12, v5
	v_mov_b32_e32 v11, v4
	s_mov_b64 s[0:1], s[10:11]
	s_mov_b32 s35, s3
	s_delay_alu instid0(VALU_DEP_2)
	v_dual_mov_b32 v10, v7 :: v_dual_mov_b32 v9, v6
	.p2align	6
.LBB7_248:                              ;   Parent Loop BB7_240 Depth=1
                                        ;     Parent Loop BB7_243 Depth=2
                                        ;       Parent Loop BB7_246 Depth=3
                                        ; =>      This Inner Loop Header: Depth=4
	global_load_b128 v[15:18], v1, s[0:1] offset:-8
	global_load_b128 v[23:26], v[11:12], off offset:-8
	v_add_co_u32 v11, vcc_lo, v11, s6
	s_add_i32 s35, s35, -1
	v_add_co_ci_u32_e32 v12, vcc_lo, s7, v12, vcc_lo
	s_add_u32 s0, s0, s8
	s_addc_u32 s1, s1, s9
	s_cmp_eq_u32 s35, 0
	s_waitcnt vmcnt(0)
	v_mul_f64 v[19:20], v[17:18], v[25:26]
	v_mul_f64 v[25:26], v[15:16], v[25:26]
	s_delay_alu instid0(VALU_DEP_2) | instskip(NEXT) | instid1(VALU_DEP_2)
	v_fma_f64 v[15:16], v[15:16], v[23:24], -v[19:20]
	v_fma_f64 v[17:18], v[17:18], v[23:24], v[25:26]
	s_delay_alu instid0(VALU_DEP_2) | instskip(NEXT) | instid1(VALU_DEP_2)
	v_add_f64 v[9:10], v[9:10], v[15:16]
	v_add_f64 v[6:7], v[6:7], v[17:18]
	s_cbranch_scc0 .LBB7_248
	s_branch .LBB7_245
.LBB7_249:                              ;   in Loop: Header=BB7_240 Depth=1
	s_mul_i32 s0, s19, s4
	s_mov_b32 s1, exec_lo
	v_cmpx_gt_i32_e64 s0, v8
	s_cbranch_execz .LBB7_239
; %bb.250:                              ;   in Loop: Header=BB7_240 Depth=1
	s_lshl_b64 s[10:11], s[4:5], 4
	s_mul_i32 s24, s4, s21
	s_add_u32 s10, s12, s10
	s_addc_u32 s11, s13, s11
	s_ashr_i32 s25, s24, 31
	v_mov_b32_e32 v12, v8
	s_lshl_b64 s[24:25], s[24:25], 4
	s_mov_b32 s27, 0
	s_add_u32 s19, s20, s24
	s_addc_u32 s24, s33, s25
	s_abs_i32 s25, s4
	s_delay_alu instid0(SALU_CYCLE_1) | instskip(SKIP_1) | instid1(VALU_DEP_1)
	v_cvt_f32_u32_e32 v0, s25
	s_sub_i32 s26, 0, s25
	v_rcp_iflag_f32_e32 v0, v0
	s_waitcnt_depctr 0xfff
	v_mul_f32_e32 v0, 0x4f7ffffe, v0
	s_delay_alu instid0(VALU_DEP_1) | instskip(NEXT) | instid1(VALU_DEP_1)
	v_cvt_u32_f32_e32 v0, v0
	v_mul_lo_u32 v2, s26, v0
	s_ashr_i32 s26, s4, 31
	s_delay_alu instid0(VALU_DEP_1) | instskip(NEXT) | instid1(VALU_DEP_1)
	v_mul_hi_u32 v2, v0, v2
	v_add_nc_u32_e32 v11, v0, v2
	s_branch .LBB7_252
.LBB7_251:                              ;   in Loop: Header=BB7_252 Depth=2
	s_set_inst_prefetch_distance 0x2
	s_delay_alu instid0(VALU_DEP_1) | instskip(NEXT) | instid1(VALU_DEP_2)
	v_mad_u64_u32 v[6:7], null, v15, s21, v[0:1]
	v_fma_f64 v[9:10], 0x80000000, v[2:3], -v[4:5]
	v_fma_f64 v[4:5], v[4:5], 0, -v[2:3]
	v_add_nc_u32_e32 v12, 0x100, v12
	s_delay_alu instid0(VALU_DEP_4) | instskip(NEXT) | instid1(VALU_DEP_1)
	v_ashrrev_i32_e32 v7, 31, v6
	v_lshlrev_b64 v[6:7], 4, v[6:7]
	s_delay_alu instid0(VALU_DEP_1) | instskip(NEXT) | instid1(VALU_DEP_2)
	v_add_co_u32 v6, vcc_lo, s19, v6
	v_add_co_ci_u32_e32 v7, vcc_lo, s24, v7, vcc_lo
	v_cmp_le_i32_e32 vcc_lo, s0, v12
	global_load_b128 v[15:18], v[6:7], off
	s_or_b32 s27, vcc_lo, s27
	s_waitcnt vmcnt(0)
	v_fma_f64 v[2:3], 0x80000000, v[17:18], v[15:16]
	v_fma_f64 v[15:16], v[15:16], 0, v[17:18]
	s_delay_alu instid0(VALU_DEP_2) | instskip(NEXT) | instid1(VALU_DEP_2)
	v_add_f64 v[2:3], v[9:10], v[2:3]
	v_add_f64 v[4:5], v[4:5], v[15:16]
	global_store_b128 v[6:7], v[2:5], off
	s_and_not1_b32 exec_lo, exec_lo, s27
	s_cbranch_execz .LBB7_239
.LBB7_252:                              ;   Parent Loop BB7_240 Depth=1
                                        ; =>  This Loop Header: Depth=2
                                        ;       Child Loop BB7_254 Depth 3
	s_delay_alu instid0(VALU_DEP_1) | instskip(NEXT) | instid1(VALU_DEP_1)
	v_mul_hi_u32 v0, v12, v11
	v_mul_lo_u32 v2, v0, s25
	v_add_nc_u32_e32 v3, 1, v0
	s_delay_alu instid0(VALU_DEP_2) | instskip(NEXT) | instid1(VALU_DEP_1)
	v_sub_nc_u32_e32 v2, v12, v2
	v_subrev_nc_u32_e32 v4, s25, v2
	v_cmp_le_u32_e32 vcc_lo, s25, v2
	s_delay_alu instid0(VALU_DEP_4) | instskip(NEXT) | instid1(VALU_DEP_3)
	v_cndmask_b32_e32 v0, v0, v3, vcc_lo
	v_cndmask_b32_e32 v2, v2, v4, vcc_lo
	s_delay_alu instid0(VALU_DEP_2) | instskip(NEXT) | instid1(VALU_DEP_2)
	v_add_nc_u32_e32 v3, 1, v0
	v_cmp_le_u32_e32 vcc_lo, s25, v2
	s_delay_alu instid0(VALU_DEP_2) | instskip(SKIP_3) | instid1(VALU_DEP_1)
	v_cndmask_b32_e32 v0, v0, v3, vcc_lo
	v_mov_b32_e32 v2, 0
	v_mov_b32_e32 v3, 0
	s_and_not1_b32 vcc_lo, exec_lo, s14
	v_mov_b32_e32 v5, v3
	v_xor_b32_e32 v0, s26, v0
	v_mov_b32_e32 v4, v2
	s_delay_alu instid0(VALU_DEP_2) | instskip(NEXT) | instid1(VALU_DEP_1)
	v_subrev_nc_u32_e32 v15, s26, v0
	v_mul_lo_u32 v0, v15, s4
	s_delay_alu instid0(VALU_DEP_1)
	v_sub_nc_u32_e32 v0, v12, v0
	s_cbranch_vccnz .LBB7_251
; %bb.253:                              ;   in Loop: Header=BB7_252 Depth=2
	v_dual_mov_b32 v2, 0 :: v_dual_mov_b32 v9, v15
	s_delay_alu instid0(VALU_DEP_2) | instskip(SKIP_1) | instid1(VALU_DEP_1)
	v_dual_mov_b32 v3, 0 :: v_dual_mov_b32 v6, v0
	s_mov_b32 s28, s3
	v_dual_mov_b32 v5, v3 :: v_dual_mov_b32 v4, v2
	s_set_inst_prefetch_distance 0x1
	.p2align	6
.LBB7_254:                              ;   Parent Loop BB7_240 Depth=1
                                        ;     Parent Loop BB7_252 Depth=2
                                        ; =>    This Inner Loop Header: Depth=3
	v_ashrrev_i32_e32 v10, 31, v9
	v_ashrrev_i32_e32 v7, 31, v6
	s_add_i32 s28, s28, -1
	s_delay_alu instid0(SALU_CYCLE_1) | instskip(NEXT) | instid1(VALU_DEP_2)
	s_cmp_eq_u32 s28, 0
	v_lshlrev_b64 v[16:17], 4, v[9:10]
	s_delay_alu instid0(VALU_DEP_2) | instskip(SKIP_2) | instid1(VALU_DEP_4)
	v_lshlrev_b64 v[18:19], 4, v[6:7]
	v_add_nc_u32_e32 v9, s22, v9
	v_add_nc_u32_e32 v6, s21, v6
	v_add_co_u32 v16, vcc_lo, s10, v16
	v_add_co_ci_u32_e32 v17, vcc_lo, s11, v17, vcc_lo
	v_add_co_u32 v23, vcc_lo, s15, v18
	v_add_co_ci_u32_e32 v24, vcc_lo, s16, v19, vcc_lo
	global_load_b128 v[16:19], v[16:17], off
	global_load_b128 v[23:26], v[23:24], off
	s_waitcnt vmcnt(0)
	v_mul_f64 v[27:28], v[18:19], v[25:26]
	v_mul_f64 v[25:26], v[16:17], v[25:26]
	s_delay_alu instid0(VALU_DEP_2) | instskip(NEXT) | instid1(VALU_DEP_2)
	v_fma_f64 v[16:17], v[16:17], v[23:24], -v[27:28]
	v_fma_f64 v[18:19], v[18:19], v[23:24], v[25:26]
	s_delay_alu instid0(VALU_DEP_2) | instskip(NEXT) | instid1(VALU_DEP_2)
	v_add_f64 v[4:5], v[4:5], v[16:17]
	v_add_f64 v[2:3], v[2:3], v[18:19]
	s_cbranch_scc0 .LBB7_254
	s_branch .LBB7_251
.LBB7_255:
	s_cmp_ge_i32 s2, s44
	s_waitcnt lgkmcnt(0)
	s_waitcnt_vscnt null, 0x0
	s_barrier
	buffer_gl0_inv
	s_cbranch_scc1 .LBB7_263
; %bb.256:
	v_lshl_add_u32 v0, v22, 4, 0x2c20
	v_mov_b32_e32 v1, 0
	s_lshl_b32 s0, s21, 8
	s_branch .LBB7_259
.LBB7_257:                              ;   in Loop: Header=BB7_259 Depth=1
	s_or_b32 exec_lo, exec_lo, s5
	s_waitcnt lgkmcnt(0)
	s_waitcnt_vscnt null, 0x0
	s_barrier
	buffer_gl0_inv
.LBB7_258:                              ;   in Loop: Header=BB7_259 Depth=1
	s_cmp_lt_i32 s1, s44
	s_mov_b32 s2, s1
	s_cbranch_scc0 .LBB7_263
.LBB7_259:                              ; =>This Loop Header: Depth=1
                                        ;     Child Loop BB7_262 Depth 2
	s_ashr_i32 s3, s2, 31
	s_delay_alu instid0(SALU_CYCLE_1) | instskip(NEXT) | instid1(SALU_CYCLE_1)
	s_lshl_b64 s[4:5], s[2:3], 2
	s_add_u32 s4, s42, s4
	s_addc_u32 s5, s43, s5
	global_load_b32 v2, v1, s[4:5]
	s_waitcnt vmcnt(0)
	v_readfirstlane_b32 s1, v2
	s_delay_alu instid0(VALU_DEP_1) | instskip(SKIP_4) | instid1(SALU_CYCLE_1)
	s_not_b32 s3, s1
	s_add_i32 s4, s1, -1
	s_cmp_lt_i32 s1, 0
	s_cselect_b32 s3, s3, s4
	s_lshr_b32 s6, s1, 31
	s_add_i32 s1, s2, s6
	s_delay_alu instid0(SALU_CYCLE_1) | instskip(SKIP_4) | instid1(SALU_CYCLE_1)
	s_add_i32 s1, s1, 1
	s_cmp_eq_u32 s3, s2
	s_cselect_b32 s4, -1, 0
	s_cmp_le_i32 s22, s1
	s_cselect_b32 s5, -1, 0
	s_or_b32 s4, s4, s5
	s_delay_alu instid0(SALU_CYCLE_1)
	s_and_b32 vcc_lo, exec_lo, s4
	s_cbranch_vccnz .LBB7_258
; %bb.260:                              ;   in Loop: Header=BB7_259 Depth=1
	s_sub_i32 s4, s22, s1
	s_mov_b32 s5, exec_lo
	v_cmpx_gt_i32_e64 s4, v8
	s_cbranch_execz .LBB7_257
; %bb.261:                              ;   in Loop: Header=BB7_259 Depth=1
	v_add3_u32 v2, s6, s2, v21
	v_mov_b32_e32 v3, v8
	s_mov_b32 s6, 0
	s_delay_alu instid0(VALU_DEP_2)
	v_mul_lo_u32 v2, s21, v2
	.p2align	6
.LBB7_262:                              ;   Parent Loop BB7_259 Depth=1
                                        ; =>  This Inner Loop Header: Depth=2
	s_delay_alu instid0(VALU_DEP_1) | instskip(SKIP_3) | instid1(VALU_DEP_4)
	v_add_nc_u32_e32 v4, s3, v2
	v_add_nc_u32_e32 v6, s2, v2
	;; [unrolled: 1-line block ×4, first 2 shown]
	v_ashrrev_i32_e32 v5, 31, v4
	s_delay_alu instid0(VALU_DEP_4) | instskip(NEXT) | instid1(VALU_DEP_2)
	v_ashrrev_i32_e32 v7, 31, v6
	v_lshlrev_b64 v[4:5], 4, v[4:5]
	s_delay_alu instid0(VALU_DEP_2) | instskip(NEXT) | instid1(VALU_DEP_2)
	v_lshlrev_b64 v[6:7], 4, v[6:7]
	v_add_co_u32 v13, vcc_lo, s20, v4
	s_delay_alu instid0(VALU_DEP_3) | instskip(NEXT) | instid1(VALU_DEP_3)
	v_add_co_ci_u32_e32 v14, vcc_lo, s33, v5, vcc_lo
	v_add_co_u32 v15, vcc_lo, s20, v6
	s_delay_alu instid0(VALU_DEP_4)
	v_add_co_ci_u32_e32 v16, vcc_lo, s33, v7, vcc_lo
	v_cmp_le_i32_e32 vcc_lo, s4, v3
	s_clause 0x1
	global_load_b128 v[4:7], v[13:14], off
	global_load_b128 v[9:12], v[15:16], off
	s_or_b32 s6, vcc_lo, s6
	s_waitcnt vmcnt(1)
	ds_store_2addr_b64 v0, v[4:5], v[6:7] offset1:1
	s_waitcnt vmcnt(0)
	s_clause 0x1
	global_store_b128 v[13:14], v[9:12], off
	global_store_b128 v[15:16], v[4:7], off
	s_and_not1_b32 exec_lo, exec_lo, s6
	s_cbranch_execnz .LBB7_262
	s_branch .LBB7_257
.LBB7_263:
	s_endpgm
	.section	.rodata,"a",@progbits
	.p2align	6, 0x0
	.amdhsa_kernel _ZN9rocsolver6v33100L18lasyf_kernel_upperI19rocblas_complex_numIdEPS3_EEviiPiT0_iilS5_lS5_PT_
		.amdhsa_group_segment_fixed_size 15392
		.amdhsa_private_segment_fixed_size 0
		.amdhsa_kernarg_size 72
		.amdhsa_user_sgpr_count 14
		.amdhsa_user_sgpr_dispatch_ptr 1
		.amdhsa_user_sgpr_queue_ptr 0
		.amdhsa_user_sgpr_kernarg_segment_ptr 1
		.amdhsa_user_sgpr_dispatch_id 0
		.amdhsa_user_sgpr_private_segment_size 0
		.amdhsa_wavefront_size32 1
		.amdhsa_uses_dynamic_stack 0
		.amdhsa_enable_private_segment 0
		.amdhsa_system_sgpr_workgroup_id_x 1
		.amdhsa_system_sgpr_workgroup_id_y 1
		.amdhsa_system_sgpr_workgroup_id_z 0
		.amdhsa_system_sgpr_workgroup_info 0
		.amdhsa_system_vgpr_workitem_id 2
		.amdhsa_next_free_vgpr 45
		.amdhsa_next_free_sgpr 82
		.amdhsa_reserve_vcc 1
		.amdhsa_float_round_mode_32 0
		.amdhsa_float_round_mode_16_64 0
		.amdhsa_float_denorm_mode_32 3
		.amdhsa_float_denorm_mode_16_64 3
		.amdhsa_dx10_clamp 1
		.amdhsa_ieee_mode 1
		.amdhsa_fp16_overflow 0
		.amdhsa_workgroup_processor_mode 1
		.amdhsa_memory_ordered 1
		.amdhsa_forward_progress 0
		.amdhsa_shared_vgpr_count 0
		.amdhsa_exception_fp_ieee_invalid_op 0
		.amdhsa_exception_fp_denorm_src 0
		.amdhsa_exception_fp_ieee_div_zero 0
		.amdhsa_exception_fp_ieee_overflow 0
		.amdhsa_exception_fp_ieee_underflow 0
		.amdhsa_exception_fp_ieee_inexact 0
		.amdhsa_exception_int_div_zero 0
	.end_amdhsa_kernel
	.section	.text._ZN9rocsolver6v33100L18lasyf_kernel_upperI19rocblas_complex_numIdEPS3_EEviiPiT0_iilS5_lS5_PT_,"axG",@progbits,_ZN9rocsolver6v33100L18lasyf_kernel_upperI19rocblas_complex_numIdEPS3_EEviiPiT0_iilS5_lS5_PT_,comdat
.Lfunc_end7:
	.size	_ZN9rocsolver6v33100L18lasyf_kernel_upperI19rocblas_complex_numIdEPS3_EEviiPiT0_iilS5_lS5_PT_, .Lfunc_end7-_ZN9rocsolver6v33100L18lasyf_kernel_upperI19rocblas_complex_numIdEPS3_EEviiPiT0_iilS5_lS5_PT_
                                        ; -- End function
	.section	.AMDGPU.csdata,"",@progbits
; Kernel info:
; codeLenInByte = 14356
; NumSgprs: 84
; NumVgprs: 45
; ScratchSize: 0
; MemoryBound: 0
; FloatMode: 240
; IeeeMode: 1
; LDSByteSize: 15392 bytes/workgroup (compile time only)
; SGPRBlocks: 10
; VGPRBlocks: 5
; NumSGPRsForWavesPerEU: 84
; NumVGPRsForWavesPerEU: 45
; Occupancy: 16
; WaveLimiterHint : 1
; COMPUTE_PGM_RSRC2:SCRATCH_EN: 0
; COMPUTE_PGM_RSRC2:USER_SGPR: 14
; COMPUTE_PGM_RSRC2:TRAP_HANDLER: 0
; COMPUTE_PGM_RSRC2:TGID_X_EN: 1
; COMPUTE_PGM_RSRC2:TGID_Y_EN: 1
; COMPUTE_PGM_RSRC2:TGID_Z_EN: 0
; COMPUTE_PGM_RSRC2:TIDIG_COMP_CNT: 2
	.section	.text._ZN9rocsolver6v33100L18lasyf_kernel_lowerI19rocblas_complex_numIdEPS3_EEviiPiT0_iilS5_lS5_PT_,"axG",@progbits,_ZN9rocsolver6v33100L18lasyf_kernel_lowerI19rocblas_complex_numIdEPS3_EEviiPiT0_iilS5_lS5_PT_,comdat
	.globl	_ZN9rocsolver6v33100L18lasyf_kernel_lowerI19rocblas_complex_numIdEPS3_EEviiPiT0_iilS5_lS5_PT_ ; -- Begin function _ZN9rocsolver6v33100L18lasyf_kernel_lowerI19rocblas_complex_numIdEPS3_EEviiPiT0_iilS5_lS5_PT_
	.p2align	8
	.type	_ZN9rocsolver6v33100L18lasyf_kernel_lowerI19rocblas_complex_numIdEPS3_EEviiPiT0_iilS5_lS5_PT_,@function
_ZN9rocsolver6v33100L18lasyf_kernel_lowerI19rocblas_complex_numIdEPS3_EEviiPiT0_iilS5_lS5_PT_: ; @_ZN9rocsolver6v33100L18lasyf_kernel_lowerI19rocblas_complex_numIdEPS3_EEviiPiT0_iilS5_lS5_PT_
; %bb.0:
	v_and_b32_e32 v8, 0x3ff, v0
	s_mov_b32 s26, s15
	s_delay_alu instid0(VALU_DEP_1) | instskip(NEXT) | instid1(VALU_DEP_1)
	v_cmp_eq_u32_e64 s4, 0, v8
	s_and_saveexec_b32 s5, s4
	s_cbranch_execz .LBB8_2
; %bb.1:
	v_mov_b32_e32 v1, 0
	ds_store_b32 v1, v1 offset:3100
.LBB8_2:
	s_or_b32 exec_lo, exec_lo, s5
	s_load_b64 s[0:1], s[0:1], 0x4
	s_clause 0x4
	s_load_b64 s[20:21], s[2:3], 0x18
	s_load_b256 s[8:15], s[2:3], 0x20
	s_load_b64 s[22:23], s[2:3], 0x0
	s_load_b128 s[16:19], s[2:3], 0x8
	s_load_b64 s[24:25], s[2:3], 0x40
	s_ashr_i32 s27, s26, 31
	v_bfe_u32 v1, v0, 10, 10
	v_bfe_u32 v0, v0, 20, 10
	v_lshlrev_b32_e32 v32, 4, v8
	s_waitcnt lgkmcnt(0)
	s_lshr_b32 s0, s0, 16
	s_ashr_i32 s3, s20, 31
	s_mul_i32 s5, s26, s9
	s_mul_hi_u32 s7, s26, s8
	s_mul_i32 s9, s27, s8
	s_add_i32 s5, s7, s5
	s_mul_i32 s6, s26, s8
	s_add_i32 s7, s5, s9
	s_mov_b32 s2, s20
	s_lshl_b64 s[30:31], s[6:7], 4
	s_mul_i32 s8, s26, s22
	s_add_u32 s7, s18, s30
	s_addc_u32 s9, s19, s31
	s_lshl_b64 s[34:35], s[2:3], 4
	s_mul_i32 s2, s8, s23
	s_add_u32 s20, s7, s34
	s_addc_u32 s33, s9, s35
	s_ashr_i32 s3, s2, 31
	s_mul_i32 s0, s0, s1
	s_lshl_b64 s[28:29], s[2:3], 4
	v_mul_lo_u32 v2, s0, v8
	s_mul_i32 s13, s26, s13
	s_mul_hi_u32 s5, s26, s12
	s_add_u32 s8, s24, s28
	v_mul_u32_u24_e32 v1, s1, v1
	s_mul_i32 s6, s27, s12
	s_addc_u32 s9, s25, s29
	s_add_i32 s1, s5, s13
	s_mul_i32 s0, s26, s12
	s_add_i32 s1, s1, s6
	v_mul_lo_u32 v30, v8, s21
	s_lshl_b64 s[0:1], s[0:1], 2
	v_add3_u32 v31, v2, v1, v0
	s_add_u32 s42, s10, s0
	s_addc_u32 s43, s11, s1
	s_cmp_lt_i32 s22, 1
	s_cbranch_scc1 .LBB8_264
; %bb.3:
	s_add_i32 s44, s23, -1
	s_cmp_eq_u32 s23, s22
	v_dual_mov_b32 v9, 0 :: v_dual_lshlrev_b32 v0, 4, v31
	s_cselect_b32 s45, -1, 0
	s_add_i32 s46, s22, -1
	s_add_i32 s47, s21, 1
	s_add_i32 s48, s22, -2
	s_add_i32 s49, s22, 1
	s_add_u32 s50, s20, -16
	s_addc_u32 s51, s33, -1
	s_add_u32 s52, s24, s28
	s_addc_u32 s53, s25, s29
	s_add_u32 s3, s30, s34
	s_addc_u32 s5, s31, s35
	;; [unrolled: 2-line block ×4, first 2 shown]
	v_add_co_u32 v38, s3, s56, v32
	v_dual_mov_b32 v12, 0 :: v_dual_add_nc_u32 v33, 0x1c20, v0
	v_add_nc_u32_e32 v34, 0xc20, v0
	v_add_co_ci_u32_e64 v39, null, s57, 0, s3
	v_add_co_u32 v0, s3, s52, v32
	s_delay_alu instid0(VALU_DEP_1)
	v_add_co_ci_u32_e64 v1, null, s53, 0, s3
	v_mul_lo_u32 v40, v8, s22
	v_add_nc_u32_e32 v37, 2, v8
	s_ashr_i32 s7, s21, 31
	s_mov_b32 s6, s21
	v_add_co_u32 v41, vcc_lo, v0, 16
	s_lshl_b64 s[12:13], s[6:7], 4
	v_add_co_ci_u32_e32 v42, vcc_lo, 0, v1, vcc_lo
	v_mul_lo_u32 v45, v8, s21
	s_add_u32 s58, s52, 8
	v_add_co_u32 v43, vcc_lo, v0, 8
	s_addc_u32 s59, s53, 0
	s_lshl_b32 s6, s22, 8
	v_lshlrev_b32_e32 v35, 3, v8
	v_lshl_or_b32 v36, v8, 2, 0x800
	v_cmp_gt_u32_e64 s0, 0x80, v8
	v_cmp_gt_u32_e64 s1, 64, v8
	;; [unrolled: 1-line block ×3, first 2 shown]
	v_add_co_ci_u32_e32 v44, vcc_lo, 0, v1, vcc_lo
	v_ashrrev_i32_e32 v46, 31, v40
	v_add_nc_u32_e32 v47, s21, v37
	s_mov_b32 s11, 0
	s_mov_b32 s10, s22
	s_ashr_i32 s7, s6, 31
	s_mov_b32 s38, 0x66afed07
	s_lshl_b64 s[36:37], s[10:11], 4
	s_mov_b32 s39, 0x3fe47e0f
	s_lshl_b32 s10, s21, 8
	s_lshl_b64 s[40:41], s[6:7], 4
                                        ; implicit-def: $sgpr60
	s_branch .LBB8_6
.LBB8_4:                                ;   in Loop: Header=BB8_6 Depth=1
	s_or_b32 exec_lo, exec_lo, s3
	v_add_nc_u32_e32 v9, v2, v9
	s_and_not1_b32 s3, s60, exec_lo
	s_delay_alu instid0(VALU_DEP_1) | instskip(SKIP_1) | instid1(SALU_CYCLE_1)
	v_cmp_le_i32_e32 vcc_lo, s22, v9
	s_and_b32 s5, vcc_lo, exec_lo
	s_or_b32 s60, s3, s5
.LBB8_5:                                ;   in Loop: Header=BB8_6 Depth=1
	s_or_b32 exec_lo, exec_lo, s61
	s_delay_alu instid0(SALU_CYCLE_1) | instskip(NEXT) | instid1(SALU_CYCLE_1)
	s_and_b32 s3, exec_lo, s60
	s_or_b32 s11, s3, s11
	s_delay_alu instid0(SALU_CYCLE_1)
	s_and_not1_b32 exec_lo, exec_lo, s11
	s_cbranch_execz .LBB8_232
.LBB8_6:                                ; =>This Loop Header: Depth=1
                                        ;     Child Loop BB8_11 Depth 2
                                        ;     Child Loop BB8_16 Depth 2
                                        ;       Child Loop BB8_18 Depth 3
                                        ;     Child Loop BB8_22 Depth 2
                                        ;     Child Loop BB8_66 Depth 2
	;; [unrolled: 1-line block ×4, first 2 shown]
                                        ;       Child Loop BB8_78 Depth 3
                                        ;     Child Loop BB8_83 Depth 2
                                        ;     Child Loop BB8_126 Depth 2
	;; [unrolled: 1-line block ×9, first 2 shown]
	v_cmp_gt_i32_e32 vcc_lo, s44, v9
	s_or_b32 s60, s60, exec_lo
	s_or_b32 s3, s45, vcc_lo
	s_delay_alu instid0(SALU_CYCLE_1)
	s_and_saveexec_b32 s61, s3
	s_cbranch_execz .LBB8_5
; %bb.7:                                ;   in Loop: Header=BB8_6 Depth=1
	v_sub_nc_u32_e32 v26, s22, v9
	v_mul_lo_u32 v15, v9, s22
	s_mov_b32 s3, exec_lo
	s_delay_alu instid0(VALU_DEP_2)
	v_cmp_gt_i32_e64 s5, v26, v8
	v_cmpx_le_i32_e64 v26, v8
	s_xor_b32 s3, exec_lo, s3
; %bb.8:                                ;   in Loop: Header=BB8_6 Depth=1
	v_mul_lo_u32 v15, v9, s22
; %bb.9:                                ;   in Loop: Header=BB8_6 Depth=1
	s_and_not1_saveexec_b32 s6, s3
	s_cbranch_execz .LBB8_13
; %bb.10:                               ;   in Loop: Header=BB8_6 Depth=1
	v_mad_u64_u32 v[0:1], null, s47, v9, v[8:9]
	v_mad_u64_u32 v[2:3], null, s49, v9, v[8:9]
	v_mov_b32_e32 v3, v12
	s_mov_b32 s7, 0
	s_delay_alu instid0(VALU_DEP_3) | instskip(NEXT) | instid1(VALU_DEP_2)
	v_ashrrev_i32_e32 v1, 31, v0
	v_lshlrev_b64 v[2:3], 4, v[2:3]
	s_delay_alu instid0(VALU_DEP_2) | instskip(NEXT) | instid1(VALU_DEP_2)
	v_lshlrev_b64 v[4:5], 4, v[0:1]
	v_add_co_u32 v0, vcc_lo, s52, v2
	s_delay_alu instid0(VALU_DEP_3) | instskip(NEXT) | instid1(VALU_DEP_3)
	v_add_co_ci_u32_e32 v1, vcc_lo, s53, v3, vcc_lo
	v_add_co_u32 v2, vcc_lo, s54, v4
	s_delay_alu instid0(VALU_DEP_4)
	v_add_co_ci_u32_e32 v3, vcc_lo, s55, v5, vcc_lo
	v_mov_b32_e32 v4, v8
	.p2align	6
.LBB8_11:                               ;   Parent Loop BB8_6 Depth=1
                                        ; =>  This Inner Loop Header: Depth=2
	global_load_b128 v[16:19], v[2:3], off
	v_add_nc_u32_e32 v4, 0x100, v4
	v_add_co_u32 v2, vcc_lo, 0x1000, v2
	v_add_co_ci_u32_e32 v3, vcc_lo, 0, v3, vcc_lo
	s_delay_alu instid0(VALU_DEP_3) | instskip(SKIP_4) | instid1(VALU_DEP_1)
	v_cmp_ge_i32_e32 vcc_lo, v4, v26
	s_or_b32 s7, vcc_lo, s7
	s_waitcnt vmcnt(0)
	global_store_b128 v[0:1], v[16:19], off
	v_add_co_u32 v0, s3, 0x1000, v0
	v_add_co_ci_u32_e64 v1, s3, 0, v1, s3
	s_and_not1_b32 exec_lo, exec_lo, s7
	s_cbranch_execnz .LBB8_11
; %bb.12:                               ;   in Loop: Header=BB8_6 Depth=1
	s_or_b32 exec_lo, exec_lo, s7
.LBB8_13:                               ;   in Loop: Header=BB8_6 Depth=1
	s_delay_alu instid0(SALU_CYCLE_1) | instskip(SKIP_1) | instid1(VALU_DEP_2)
	s_or_b32 exec_lo, exec_lo, s6
	v_mov_b32_e32 v10, v12
	v_ashrrev_i32_e32 v16, 31, v15
	s_waitcnt_vscnt null, 0x0
	s_waitcnt lgkmcnt(0)
	s_barrier
	buffer_gl0_inv
	v_lshlrev_b64 v[17:18], 4, v[9:10]
	v_lshlrev_b64 v[2:3], 4, v[15:16]
	s_delay_alu instid0(VALU_DEP_2) | instskip(NEXT) | instid1(VALU_DEP_3)
	v_add_co_u32 v16, vcc_lo, s8, v17
	v_add_co_ci_u32_e32 v27, vcc_lo, s9, v18, vcc_lo
	s_delay_alu instid0(VALU_DEP_2) | instskip(NEXT) | instid1(VALU_DEP_2)
	v_add_co_u32 v13, vcc_lo, v16, v2
	v_add_co_ci_u32_e32 v14, vcc_lo, v27, v3, vcc_lo
	s_and_saveexec_b32 s7, s5
	s_cbranch_execz .LBB8_20
; %bb.14:                               ;   in Loop: Header=BB8_6 Depth=1
	v_add_co_u32 v0, s3, v38, v17
	s_delay_alu instid0(VALU_DEP_1)
	v_add_co_ci_u32_e64 v1, s3, v39, v18, s3
	v_add_co_u32 v4, s3, s58, v17
	v_cmp_ne_u32_e32 vcc_lo, 0, v9
	v_add_co_ci_u32_e64 v5, s3, s59, v18, s3
	v_mov_b32_e32 v11, v8
	s_mov_b32 s62, 0
	s_branch .LBB8_16
.LBB8_15:                               ;   in Loop: Header=BB8_16 Depth=2
	s_or_b32 exec_lo, exec_lo, s63
	v_lshlrev_b64 v[21:22], 4, v[11:12]
	s_delay_alu instid0(VALU_DEP_2) | instskip(SKIP_4) | instid1(VALU_DEP_1)
	v_fma_f64 v[48:49], 0x80000000, v[6:7], -v[19:20]
	v_fma_f64 v[6:7], v[19:20], 0, -v[6:7]
	v_add_nc_u32_e32 v11, 0x100, v11
	v_add_co_u32 v0, s6, 0x1000, v0
	v_add_co_u32 v28, s3, v13, v21
	v_add_co_ci_u32_e64 v29, s3, v14, v22, s3
	s_delay_alu instid0(VALU_DEP_4)
	v_cmp_ge_i32_e64 s3, v11, v26
	v_add_co_ci_u32_e64 v1, s6, 0, v1, s6
	global_load_b128 v[21:24], v[28:29], off
	s_or_b32 s62, s3, s62
	s_waitcnt vmcnt(0)
	v_fma_f64 v[19:20], 0x80000000, v[23:24], v[21:22]
	v_fma_f64 v[21:22], v[21:22], 0, v[23:24]
	s_delay_alu instid0(VALU_DEP_2) | instskip(NEXT) | instid1(VALU_DEP_2)
	v_add_f64 v[19:20], v[48:49], v[19:20]
	v_add_f64 v[21:22], v[6:7], v[21:22]
	global_store_b128 v[28:29], v[19:22], off
	s_and_not1_b32 exec_lo, exec_lo, s62
	s_cbranch_execz .LBB8_20
.LBB8_16:                               ;   Parent Loop BB8_6 Depth=1
                                        ; =>  This Loop Header: Depth=2
                                        ;       Child Loop BB8_18 Depth 3
	v_mov_b32_e32 v6, 0
	v_mov_b32_e32 v7, 0
	s_delay_alu instid0(VALU_DEP_1)
	v_dual_mov_b32 v20, v7 :: v_dual_mov_b32 v19, v6
	s_and_saveexec_b32 s63, vcc_lo
	s_cbranch_execz .LBB8_15
; %bb.17:                               ;   in Loop: Header=BB8_16 Depth=2
	v_mov_b32_e32 v6, 0
	v_dual_mov_b32 v7, 0 :: v_dual_mov_b32 v22, v5
	v_mov_b32_e32 v25, v9
	v_dual_mov_b32 v21, v4 :: v_dual_mov_b32 v24, v1
	s_delay_alu instid0(VALU_DEP_3)
	v_dual_mov_b32 v23, v0 :: v_dual_mov_b32 v20, v7
	v_mov_b32_e32 v19, v6
	s_mov_b32 s64, 0
	.p2align	6
.LBB8_18:                               ;   Parent Loop BB8_6 Depth=1
                                        ;     Parent Loop BB8_16 Depth=2
                                        ; =>    This Inner Loop Header: Depth=3
	global_load_b128 v[48:51], v[21:22], off offset:-8
	global_load_b128 v[52:55], v[23:24], off offset:-8
	v_add_nc_u32_e32 v25, -1, v25
	v_add_co_u32 v23, s3, v23, s12
	s_delay_alu instid0(VALU_DEP_1) | instskip(NEXT) | instid1(VALU_DEP_3)
	v_add_co_ci_u32_e64 v24, s3, s13, v24, s3
	v_cmp_eq_u32_e64 s3, 0, v25
	v_add_co_u32 v21, s6, v21, s36
	s_delay_alu instid0(VALU_DEP_1) | instskip(NEXT) | instid1(VALU_DEP_3)
	v_add_co_ci_u32_e64 v22, s6, s37, v22, s6
	s_or_b32 s64, s3, s64
	s_waitcnt vmcnt(0)
	v_mul_f64 v[28:29], v[50:51], v[54:55]
	v_mul_f64 v[54:55], v[48:49], v[54:55]
	s_delay_alu instid0(VALU_DEP_2) | instskip(NEXT) | instid1(VALU_DEP_2)
	v_fma_f64 v[28:29], v[48:49], v[52:53], -v[28:29]
	v_fma_f64 v[48:49], v[50:51], v[52:53], v[54:55]
	s_delay_alu instid0(VALU_DEP_2) | instskip(NEXT) | instid1(VALU_DEP_2)
	v_add_f64 v[19:20], v[19:20], v[28:29]
	v_add_f64 v[6:7], v[6:7], v[48:49]
	s_and_not1_b32 exec_lo, exec_lo, s64
	s_cbranch_execnz .LBB8_18
; %bb.19:                               ;   in Loop: Header=BB8_16 Depth=2
	s_or_b32 exec_lo, exec_lo, s64
	s_branch .LBB8_15
.LBB8_20:                               ;   in Loop: Header=BB8_6 Depth=1
	s_or_b32 exec_lo, exec_lo, s7
	v_dual_mov_b32 v0, 0 :: v_dual_add_nc_u32 v25, -1, v26
	v_mov_b32_e32 v1, 0
	v_bfrev_b32_e32 v4, -2
	s_waitcnt_vscnt null, 0x0
	s_delay_alu instid0(VALU_DEP_3)
	v_cmp_gt_i32_e64 s3, v25, v8
	s_barrier
	buffer_gl0_inv
	s_and_saveexec_b32 s62, s3
	s_cbranch_execz .LBB8_24
; %bb.21:                               ;   in Loop: Header=BB8_6 Depth=1
	v_add_co_u32 v0, vcc_lo, v2, v17
	v_add_co_ci_u32_e32 v1, vcc_lo, v3, v18, vcc_lo
	v_bfrev_b32_e32 v4, -2
	s_delay_alu instid0(VALU_DEP_3) | instskip(NEXT) | instid1(VALU_DEP_3)
	v_add_co_u32 v2, vcc_lo, v41, v0
	v_add_co_ci_u32_e32 v3, vcc_lo, v42, v1, vcc_lo
	v_dual_mov_b32 v0, 0 :: v_dual_mov_b32 v5, v8
	v_mov_b32_e32 v1, 0
	s_mov_b32 s63, 0
	s_set_inst_prefetch_distance 0x1
	.p2align	6
.LBB8_22:                               ;   Parent Loop BB8_6 Depth=1
                                        ; =>  This Inner Loop Header: Depth=2
	global_load_b128 v[19:22], v[2:3], off
	v_add_co_u32 v2, s7, 0x1000, v2
	s_delay_alu instid0(VALU_DEP_1)
	v_add_co_ci_u32_e64 v3, s7, 0, v3, s7
	v_add_nc_u32_e32 v11, 1, v5
	s_waitcnt vmcnt(0)
	v_cmp_gt_f64_e32 vcc_lo, 0, v[21:22]
	v_cmp_gt_f64_e64 s6, 0, v[19:20]
	v_xor_b32_e32 v6, 0x80000000, v20
	v_xor_b32_e32 v7, 0x80000000, v22
	s_delay_alu instid0(VALU_DEP_1) | instskip(NEXT) | instid1(VALU_DEP_3)
	v_cndmask_b32_e32 v22, v22, v7, vcc_lo
	v_cndmask_b32_e64 v20, v20, v6, s6
	v_cmp_eq_u32_e64 s6, 0x7fffffff, v4
	s_delay_alu instid0(VALU_DEP_2) | instskip(NEXT) | instid1(VALU_DEP_1)
	v_add_f64 v[6:7], v[19:20], v[21:22]
	v_cmp_lt_f64_e32 vcc_lo, v[0:1], v[6:7]
	s_delay_alu instid0(VALU_DEP_3) | instskip(SKIP_2) | instid1(VALU_DEP_2)
	s_or_b32 vcc_lo, vcc_lo, s6
	v_dual_cndmask_b32 v4, v4, v11 :: v_dual_add_nc_u32 v5, 0x100, v5
	v_dual_cndmask_b32 v1, v1, v7 :: v_dual_cndmask_b32 v0, v0, v6
	v_cmp_ge_i32_e64 s7, v5, v25
	s_delay_alu instid0(VALU_DEP_1) | instskip(NEXT) | instid1(SALU_CYCLE_1)
	s_or_b32 s63, s7, s63
	s_and_not1_b32 exec_lo, exec_lo, s63
	s_cbranch_execnz .LBB8_22
; %bb.23:                               ;   in Loop: Header=BB8_6 Depth=1
	s_set_inst_prefetch_distance 0x2
	s_or_b32 exec_lo, exec_lo, s63
.LBB8_24:                               ;   in Loop: Header=BB8_6 Depth=1
	s_delay_alu instid0(SALU_CYCLE_1) | instskip(NEXT) | instid1(SALU_CYCLE_1)
	s_or_b32 exec_lo, exec_lo, s62
	s_mov_b32 s62, exec_lo
	ds_store_b64 v35, v[0:1]
	ds_store_b32 v36, v4
	s_waitcnt lgkmcnt(0)
	s_barrier
	buffer_gl0_inv
	v_cmpx_lt_i32_e32 2, v26
	s_cbranch_execz .LBB8_60
; %bb.25:                               ;   in Loop: Header=BB8_6 Depth=1
	s_and_saveexec_b32 s7, s0
	s_cbranch_execz .LBB8_31
; %bb.26:                               ;   in Loop: Header=BB8_6 Depth=1
	ds_load_b64 v[2:3], v35 offset:1024
	ds_load_b32 v5, v36 offset:512
	s_mov_b32 s64, exec_lo
	s_waitcnt lgkmcnt(1)
	v_cmp_lt_f64_e64 s63, v[0:1], v[2:3]
	v_cmpx_nlt_f64_e32 v[0:1], v[2:3]
	s_cbranch_execz .LBB8_28
; %bb.27:                               ;   in Loop: Header=BB8_6 Depth=1
	v_cmp_eq_f64_e32 vcc_lo, v[0:1], v[2:3]
	s_waitcnt lgkmcnt(0)
	v_cmp_gt_i32_e64 s6, v4, v5
	s_delay_alu instid0(VALU_DEP_4) | instskip(NEXT) | instid1(VALU_DEP_1)
	s_and_not1_b32 s63, s63, exec_lo
	s_and_b32 s6, vcc_lo, s6
	s_delay_alu instid0(SALU_CYCLE_1) | instskip(NEXT) | instid1(SALU_CYCLE_1)
	s_and_b32 s6, s6, exec_lo
	s_or_b32 s63, s63, s6
.LBB8_28:                               ;   in Loop: Header=BB8_6 Depth=1
	s_or_b32 exec_lo, exec_lo, s64
	s_delay_alu instid0(VALU_DEP_2)
	s_and_saveexec_b32 s6, s63
	s_cbranch_execz .LBB8_30
; %bb.29:                               ;   in Loop: Header=BB8_6 Depth=1
	v_dual_mov_b32 v0, v2 :: v_dual_mov_b32 v1, v3
	s_waitcnt lgkmcnt(0)
	v_mov_b32_e32 v4, v5
	ds_store_b64 v35, v[2:3]
	ds_store_b32 v36, v5
.LBB8_30:                               ;   in Loop: Header=BB8_6 Depth=1
	s_or_b32 exec_lo, exec_lo, s6
.LBB8_31:                               ;   in Loop: Header=BB8_6 Depth=1
	s_delay_alu instid0(SALU_CYCLE_1)
	s_or_b32 exec_lo, exec_lo, s7
	s_waitcnt lgkmcnt(0)
	s_barrier
	buffer_gl0_inv
	s_and_saveexec_b32 s7, s1
	s_cbranch_execz .LBB8_37
; %bb.32:                               ;   in Loop: Header=BB8_6 Depth=1
	ds_load_b64 v[2:3], v35 offset:512
	ds_load_b32 v5, v36 offset:256
	s_mov_b32 s64, exec_lo
	s_waitcnt lgkmcnt(1)
	v_cmp_lt_f64_e64 s63, v[0:1], v[2:3]
	v_cmpx_nlt_f64_e32 v[0:1], v[2:3]
	s_cbranch_execz .LBB8_34
; %bb.33:                               ;   in Loop: Header=BB8_6 Depth=1
	v_cmp_eq_f64_e32 vcc_lo, v[0:1], v[2:3]
	s_waitcnt lgkmcnt(0)
	v_cmp_gt_i32_e64 s6, v4, v5
	s_delay_alu instid0(VALU_DEP_4) | instskip(NEXT) | instid1(VALU_DEP_1)
	s_and_not1_b32 s63, s63, exec_lo
	s_and_b32 s6, vcc_lo, s6
	s_delay_alu instid0(SALU_CYCLE_1) | instskip(NEXT) | instid1(SALU_CYCLE_1)
	s_and_b32 s6, s6, exec_lo
	s_or_b32 s63, s63, s6
.LBB8_34:                               ;   in Loop: Header=BB8_6 Depth=1
	s_or_b32 exec_lo, exec_lo, s64
	s_delay_alu instid0(VALU_DEP_2)
	s_and_saveexec_b32 s6, s63
	s_cbranch_execz .LBB8_36
; %bb.35:                               ;   in Loop: Header=BB8_6 Depth=1
	v_dual_mov_b32 v0, v2 :: v_dual_mov_b32 v1, v3
	s_waitcnt lgkmcnt(0)
	v_mov_b32_e32 v4, v5
	ds_store_b64 v35, v[2:3]
	ds_store_b32 v36, v5
.LBB8_36:                               ;   in Loop: Header=BB8_6 Depth=1
	s_or_b32 exec_lo, exec_lo, s6
.LBB8_37:                               ;   in Loop: Header=BB8_6 Depth=1
	s_delay_alu instid0(SALU_CYCLE_1)
	s_or_b32 exec_lo, exec_lo, s7
	s_waitcnt lgkmcnt(0)
	s_barrier
	buffer_gl0_inv
	s_and_b32 exec_lo, exec_lo, s2
	s_cbranch_execz .LBB8_60
; %bb.38:                               ;   in Loop: Header=BB8_6 Depth=1
	ds_load_b64 v[2:3], v35 offset:256
	ds_load_b32 v5, v36 offset:128
	s_mov_b32 s63, exec_lo
	s_waitcnt lgkmcnt(1)
	v_cmp_lt_f64_e64 s7, v[0:1], v[2:3]
	v_cmpx_nlt_f64_e32 v[0:1], v[2:3]
	s_cbranch_execz .LBB8_40
; %bb.39:                               ;   in Loop: Header=BB8_6 Depth=1
	v_cmp_eq_f64_e32 vcc_lo, v[0:1], v[2:3]
	s_waitcnt lgkmcnt(0)
	v_cmp_gt_i32_e64 s6, v4, v5
	s_delay_alu instid0(VALU_DEP_4) | instskip(NEXT) | instid1(VALU_DEP_1)
	s_and_not1_b32 s7, s7, exec_lo
	s_and_b32 s6, vcc_lo, s6
	s_delay_alu instid0(SALU_CYCLE_1) | instskip(NEXT) | instid1(SALU_CYCLE_1)
	s_and_b32 s6, s6, exec_lo
	s_or_b32 s7, s7, s6
.LBB8_40:                               ;   in Loop: Header=BB8_6 Depth=1
	s_or_b32 exec_lo, exec_lo, s63
	s_delay_alu instid0(VALU_DEP_2)
	s_and_saveexec_b32 s6, s7
	s_cbranch_execz .LBB8_42
; %bb.41:                               ;   in Loop: Header=BB8_6 Depth=1
	v_mov_b32_e32 v0, v2
	s_waitcnt lgkmcnt(0)
	v_dual_mov_b32 v4, v5 :: v_dual_mov_b32 v1, v3
	ds_store_b64 v35, v[2:3]
	ds_store_b32 v36, v5
.LBB8_42:                               ;   in Loop: Header=BB8_6 Depth=1
	s_or_b32 exec_lo, exec_lo, s6
	ds_load_b64 v[2:3], v35 offset:128
	s_waitcnt lgkmcnt(1)
	ds_load_b32 v5, v36 offset:64
	s_mov_b32 s63, exec_lo
	s_waitcnt lgkmcnt(1)
	v_cmp_lt_f64_e64 s7, v[0:1], v[2:3]
	v_cmpx_nlt_f64_e32 v[0:1], v[2:3]
	s_cbranch_execz .LBB8_44
; %bb.43:                               ;   in Loop: Header=BB8_6 Depth=1
	v_cmp_eq_f64_e32 vcc_lo, v[0:1], v[2:3]
	s_waitcnt lgkmcnt(0)
	v_cmp_gt_i32_e64 s6, v4, v5
	s_delay_alu instid0(VALU_DEP_4) | instskip(NEXT) | instid1(VALU_DEP_1)
	s_and_not1_b32 s7, s7, exec_lo
	s_and_b32 s6, vcc_lo, s6
	s_delay_alu instid0(SALU_CYCLE_1) | instskip(NEXT) | instid1(SALU_CYCLE_1)
	s_and_b32 s6, s6, exec_lo
	s_or_b32 s7, s7, s6
.LBB8_44:                               ;   in Loop: Header=BB8_6 Depth=1
	s_or_b32 exec_lo, exec_lo, s63
	s_delay_alu instid0(VALU_DEP_2)
	s_and_saveexec_b32 s6, s7
	s_cbranch_execz .LBB8_46
; %bb.45:                               ;   in Loop: Header=BB8_6 Depth=1
	v_mov_b32_e32 v0, v2
	s_waitcnt lgkmcnt(0)
	v_dual_mov_b32 v4, v5 :: v_dual_mov_b32 v1, v3
	ds_store_b64 v35, v[2:3]
	ds_store_b32 v36, v5
.LBB8_46:                               ;   in Loop: Header=BB8_6 Depth=1
	s_or_b32 exec_lo, exec_lo, s6
	ds_load_b64 v[2:3], v35 offset:64
	s_waitcnt lgkmcnt(1)
	;; [unrolled: 31-line block ×5, first 2 shown]
	ds_load_b32 v5, v36 offset:4
	s_waitcnt lgkmcnt(1)
	v_cmp_eq_f64_e32 vcc_lo, v[0:1], v[2:3]
	v_cmp_lt_f64_e64 s6, v[0:1], v[2:3]
	s_waitcnt lgkmcnt(0)
	v_cmp_gt_i32_e64 s7, v4, v5
	s_delay_alu instid0(VALU_DEP_1)
	s_and_b32 s7, vcc_lo, s7
	s_delay_alu instid0(VALU_DEP_2) | instid1(SALU_CYCLE_1)
	s_or_b32 s6, s6, s7
	s_delay_alu instid0(SALU_CYCLE_1)
	s_and_b32 exec_lo, exec_lo, s6
	s_cbranch_execz .LBB8_60
; %bb.59:                               ;   in Loop: Header=BB8_6 Depth=1
	ds_store_b64 v35, v[2:3]
	ds_store_b32 v36, v5
.LBB8_60:                               ;   in Loop: Header=BB8_6 Depth=1
	s_or_b32 exec_lo, exec_lo, s62
	s_and_saveexec_b32 s6, s4
	s_cbranch_execz .LBB8_62
; %bb.61:                               ;   in Loop: Header=BB8_6 Depth=1
	global_load_b128 v[0:3], v[13:14], off
	s_waitcnt vmcnt(0)
	v_cmp_gt_f64_e32 vcc_lo, 0, v[0:1]
	v_xor_b32_e32 v4, 0x80000000, v1
	v_xor_b32_e32 v5, 0x80000000, v3
	s_delay_alu instid0(VALU_DEP_2) | instskip(SKIP_1) | instid1(VALU_DEP_3)
	v_cndmask_b32_e32 v1, v1, v4, vcc_lo
	v_cmp_gt_f64_e32 vcc_lo, 0, v[2:3]
	v_cndmask_b32_e32 v3, v3, v5, vcc_lo
	s_delay_alu instid0(VALU_DEP_1)
	v_add_f64 v[0:1], v[0:1], v[2:3]
	ds_load_b32 v4, v12 offset:2048
	ds_load_b64 v[2:3], v12
	s_waitcnt lgkmcnt(1)
	v_add_nc_u32_e32 v4, v4, v9
	ds_store_b32 v12, v4 offset:3096
	s_waitcnt lgkmcnt(1)
	ds_store_b128 v12, v[0:3] offset:3072
.LBB8_62:                               ;   in Loop: Header=BB8_6 Depth=1
	s_or_b32 exec_lo, exec_lo, s6
	s_waitcnt lgkmcnt(0)
	s_barrier
	buffer_gl0_inv
	ds_load_b128 v[0:3], v12 offset:3072
	v_add_nc_u32_e32 v48, 1, v9
	s_waitcnt lgkmcnt(0)
	v_cmp_lt_f64_e32 vcc_lo, v[0:1], v[2:3]
	v_dual_cndmask_b32 v5, v1, v3 :: v_dual_cndmask_b32 v4, v0, v2
	s_delay_alu instid0(VALU_DEP_1)
	v_cmp_neq_f64_e32 vcc_lo, 0, v[4:5]
	s_cbranch_vccz .LBB8_80
; %bb.63:                               ;   in Loop: Header=BB8_6 Depth=1
	v_mul_f64 v[2:3], v[2:3], s[38:39]
	s_delay_alu instid0(VALU_DEP_1)
	v_cmp_ge_f64_e32 vcc_lo, v[0:1], v[2:3]
	s_cbranch_vccnz .LBB8_175
; %bb.64:                               ;   in Loop: Header=BB8_6 Depth=1
	ds_load_b32 v1, v12 offset:3096
	s_mov_b32 s7, exec_lo
	s_waitcnt lgkmcnt(0)
	v_sub_nc_u32_e32 v0, v1, v9
	s_delay_alu instid0(VALU_DEP_1)
	v_cmpx_gt_i32_e64 v0, v8
	s_cbranch_execz .LBB8_67
; %bb.65:                               ;   in Loop: Header=BB8_6 Depth=1
	v_add_nc_u32_e32 v4, v8, v9
	s_mov_b32 s62, 0
	s_delay_alu instid0(VALU_DEP_1) | instskip(NEXT) | instid1(VALU_DEP_1)
	v_mad_u64_u32 v[2:3], null, v48, s22, v[4:5]
	v_ashrrev_i32_e32 v3, 31, v2
	s_delay_alu instid0(VALU_DEP_1) | instskip(SKIP_1) | instid1(VALU_DEP_2)
	v_lshlrev_b64 v[5:6], 4, v[2:3]
	v_mad_u64_u32 v[2:3], null, s21, v4, v[1:2]
	v_add_co_u32 v4, vcc_lo, s52, v5
	s_delay_alu instid0(VALU_DEP_3)
	v_add_co_ci_u32_e32 v5, vcc_lo, s53, v6, vcc_lo
	v_mov_b32_e32 v6, v8
	.p2align	6
.LBB8_66:                               ;   Parent Loop BB8_6 Depth=1
                                        ; =>  This Inner Loop Header: Depth=2
	s_delay_alu instid0(VALU_DEP_4) | instskip(NEXT) | instid1(VALU_DEP_2)
	v_ashrrev_i32_e32 v3, 31, v2
	v_add_nc_u32_e32 v6, 0x100, v6
	s_delay_alu instid0(VALU_DEP_2) | instskip(SKIP_1) | instid1(VALU_DEP_2)
	v_lshlrev_b64 v[19:20], 4, v[2:3]
	v_add_nc_u32_e32 v2, s10, v2
	v_add_co_u32 v19, vcc_lo, s20, v19
	s_delay_alu instid0(VALU_DEP_3)
	v_add_co_ci_u32_e32 v20, vcc_lo, s33, v20, vcc_lo
	v_cmp_ge_i32_e32 vcc_lo, v6, v0
	global_load_b128 v[19:22], v[19:20], off
	s_or_b32 s62, vcc_lo, s62
	s_waitcnt vmcnt(0)
	global_store_b128 v[4:5], v[19:22], off
	v_add_co_u32 v4, s6, 0x1000, v4
	s_delay_alu instid0(VALU_DEP_1)
	v_add_co_ci_u32_e64 v5, s6, 0, v5, s6
	s_and_not1_b32 exec_lo, exec_lo, s62
	s_cbranch_execnz .LBB8_66
.LBB8_67:                               ;   in Loop: Header=BB8_6 Depth=1
	s_or_b32 exec_lo, exec_lo, s7
	v_sub_nc_u32_e32 v5, s22, v1
	s_mov_b32 s6, exec_lo
                                        ; implicit-def: $vgpr0
	s_delay_alu instid0(VALU_DEP_1)
	v_cmpx_le_i32_e64 v5, v8
	s_xor_b32 s6, exec_lo, s6
; %bb.68:                               ;   in Loop: Header=BB8_6 Depth=1
	v_mul_lo_u32 v0, v48, s22
                                        ; implicit-def: $vgpr5
                                        ; implicit-def: $vgpr1
; %bb.69:                               ;   in Loop: Header=BB8_6 Depth=1
	s_and_not1_saveexec_b32 s7, s6
	s_cbranch_execz .LBB8_73
; %bb.70:                               ;   in Loop: Header=BB8_6 Depth=1
	v_mul_lo_u32 v0, v48, s22
	v_mad_u64_u32 v[2:3], null, s47, v1, v[8:9]
	s_mov_b32 s62, 0
	s_delay_alu instid0(VALU_DEP_2) | instskip(NEXT) | instid1(VALU_DEP_2)
	v_add3_u32 v6, v8, v1, v0
	v_ashrrev_i32_e32 v3, 31, v2
	s_delay_alu instid0(VALU_DEP_2) | instskip(NEXT) | instid1(VALU_DEP_2)
	v_ashrrev_i32_e32 v7, 31, v6
	v_lshlrev_b64 v[1:2], 4, v[2:3]
	s_delay_alu instid0(VALU_DEP_2) | instskip(SKIP_1) | instid1(VALU_DEP_3)
	v_lshlrev_b64 v[3:4], 4, v[6:7]
	v_mov_b32_e32 v6, v8
	v_add_co_u32 v1, vcc_lo, s54, v1
	s_delay_alu instid0(VALU_DEP_4) | instskip(NEXT) | instid1(VALU_DEP_4)
	v_add_co_ci_u32_e32 v2, vcc_lo, s55, v2, vcc_lo
	v_add_co_u32 v3, vcc_lo, s52, v3
	v_add_co_ci_u32_e32 v4, vcc_lo, s53, v4, vcc_lo
	.p2align	6
.LBB8_71:                               ;   Parent Loop BB8_6 Depth=1
                                        ; =>  This Inner Loop Header: Depth=2
	global_load_b128 v[19:22], v[1:2], off
	v_add_nc_u32_e32 v6, 0x100, v6
	v_add_co_u32 v1, vcc_lo, 0x1000, v1
	v_add_co_ci_u32_e32 v2, vcc_lo, 0, v2, vcc_lo
	s_delay_alu instid0(VALU_DEP_3) | instskip(SKIP_4) | instid1(VALU_DEP_1)
	v_cmp_ge_i32_e32 vcc_lo, v6, v5
	s_or_b32 s62, vcc_lo, s62
	s_waitcnt vmcnt(0)
	global_store_b128 v[3:4], v[19:22], off
	v_add_co_u32 v3, s6, 0x1000, v3
	v_add_co_ci_u32_e64 v4, s6, 0, v4, s6
	s_and_not1_b32 exec_lo, exec_lo, s62
	s_cbranch_execnz .LBB8_71
; %bb.72:                               ;   in Loop: Header=BB8_6 Depth=1
	s_or_b32 exec_lo, exec_lo, s62
.LBB8_73:                               ;   in Loop: Header=BB8_6 Depth=1
	s_delay_alu instid0(SALU_CYCLE_1) | instskip(NEXT) | instid1(VALU_DEP_1)
	s_or_b32 exec_lo, exec_lo, s7
	v_ashrrev_i32_e32 v1, 31, v0
	s_waitcnt_vscnt null, 0x0
	s_barrier
	buffer_gl0_inv
	s_and_saveexec_b32 s62, s5
	s_cbranch_execz .LBB8_81
; %bb.74:                               ;   in Loop: Header=BB8_6 Depth=1
	ds_load_b32 v4, v12 offset:3096
	v_lshlrev_b64 v[6:7], 4, v[0:1]
	v_add_co_u32 v2, s6, v38, v17
	s_delay_alu instid0(VALU_DEP_1) | instskip(SKIP_1) | instid1(VALU_DEP_4)
	v_add_co_ci_u32_e64 v3, s6, v39, v18, s6
	v_cmp_ne_u32_e32 vcc_lo, 0, v9
	v_add_co_u32 v16, s6, v16, v6
	s_delay_alu instid0(VALU_DEP_1) | instskip(SKIP_4) | instid1(VALU_DEP_1)
	v_add_co_ci_u32_e64 v27, s6, v27, v7, s6
	v_mov_b32_e32 v11, v8
	s_mov_b32 s63, 0
	s_waitcnt lgkmcnt(0)
	v_ashrrev_i32_e32 v5, 31, v4
	v_lshlrev_b64 v[4:5], 4, v[4:5]
	s_delay_alu instid0(VALU_DEP_1) | instskip(NEXT) | instid1(VALU_DEP_1)
	v_add_co_u32 v4, s6, s58, v4
	v_add_co_ci_u32_e64 v5, s6, s59, v5, s6
	s_branch .LBB8_76
.LBB8_75:                               ;   in Loop: Header=BB8_76 Depth=2
	s_or_b32 exec_lo, exec_lo, s64
	v_lshlrev_b64 v[21:22], 4, v[11:12]
	s_delay_alu instid0(VALU_DEP_2) | instskip(SKIP_4) | instid1(VALU_DEP_1)
	v_fma_f64 v[49:50], 0x80000000, v[6:7], -v[19:20]
	v_fma_f64 v[6:7], v[19:20], 0, -v[6:7]
	v_add_nc_u32_e32 v11, 0x100, v11
	v_add_co_u32 v2, s7, 0x1000, v2
	v_add_co_u32 v28, s6, v16, v21
	v_add_co_ci_u32_e64 v29, s6, v27, v22, s6
	s_delay_alu instid0(VALU_DEP_4)
	v_cmp_ge_i32_e64 s6, v11, v26
	v_add_co_ci_u32_e64 v3, s7, 0, v3, s7
	global_load_b128 v[21:24], v[28:29], off
	s_or_b32 s63, s6, s63
	s_waitcnt vmcnt(0)
	v_fma_f64 v[19:20], 0x80000000, v[23:24], v[21:22]
	v_fma_f64 v[21:22], v[21:22], 0, v[23:24]
	s_delay_alu instid0(VALU_DEP_2) | instskip(NEXT) | instid1(VALU_DEP_2)
	v_add_f64 v[19:20], v[49:50], v[19:20]
	v_add_f64 v[21:22], v[6:7], v[21:22]
	global_store_b128 v[28:29], v[19:22], off
	s_and_not1_b32 exec_lo, exec_lo, s63
	s_cbranch_execz .LBB8_81
.LBB8_76:                               ;   Parent Loop BB8_6 Depth=1
                                        ; =>  This Loop Header: Depth=2
                                        ;       Child Loop BB8_78 Depth 3
	v_mov_b32_e32 v6, 0
	v_mov_b32_e32 v7, 0
	s_delay_alu instid0(VALU_DEP_1)
	v_dual_mov_b32 v20, v7 :: v_dual_mov_b32 v19, v6
	s_and_saveexec_b32 s64, vcc_lo
	s_cbranch_execz .LBB8_75
; %bb.77:                               ;   in Loop: Header=BB8_76 Depth=2
	v_mov_b32_e32 v6, 0
	v_dual_mov_b32 v7, 0 :: v_dual_mov_b32 v22, v5
	v_dual_mov_b32 v21, v4 :: v_dual_mov_b32 v24, v3
	s_delay_alu instid0(VALU_DEP_2) | instskip(NEXT) | instid1(VALU_DEP_4)
	v_dual_mov_b32 v23, v2 :: v_dual_mov_b32 v20, v7
	v_dual_mov_b32 v28, v9 :: v_dual_mov_b32 v19, v6
	s_mov_b32 s65, 0
	.p2align	6
.LBB8_78:                               ;   Parent Loop BB8_6 Depth=1
                                        ;     Parent Loop BB8_76 Depth=2
                                        ; =>    This Inner Loop Header: Depth=3
	global_load_b128 v[49:52], v[21:22], off offset:-8
	global_load_b128 v[53:56], v[23:24], off offset:-8
	v_add_nc_u32_e32 v28, -1, v28
	v_add_co_u32 v23, s6, v23, s12
	s_delay_alu instid0(VALU_DEP_1) | instskip(NEXT) | instid1(VALU_DEP_3)
	v_add_co_ci_u32_e64 v24, s6, s13, v24, s6
	v_cmp_eq_u32_e64 s6, 0, v28
	v_add_co_u32 v21, s7, v21, s36
	s_delay_alu instid0(VALU_DEP_1) | instskip(NEXT) | instid1(VALU_DEP_3)
	v_add_co_ci_u32_e64 v22, s7, s37, v22, s7
	s_or_b32 s65, s6, s65
	s_waitcnt vmcnt(0)
	v_mul_f64 v[57:58], v[51:52], v[55:56]
	v_mul_f64 v[55:56], v[49:50], v[55:56]
	s_delay_alu instid0(VALU_DEP_2) | instskip(NEXT) | instid1(VALU_DEP_2)
	v_fma_f64 v[49:50], v[49:50], v[53:54], -v[57:58]
	v_fma_f64 v[51:52], v[51:52], v[53:54], v[55:56]
	s_delay_alu instid0(VALU_DEP_2) | instskip(NEXT) | instid1(VALU_DEP_2)
	v_add_f64 v[19:20], v[19:20], v[49:50]
	v_add_f64 v[6:7], v[6:7], v[51:52]
	s_and_not1_b32 exec_lo, exec_lo, s65
	s_cbranch_execnz .LBB8_78
; %bb.79:                               ;   in Loop: Header=BB8_76 Depth=2
	s_or_b32 exec_lo, exec_lo, s65
	s_branch .LBB8_75
.LBB8_80:                               ;   in Loop: Header=BB8_6 Depth=1
                                        ; implicit-def: $sgpr5
                                        ; implicit-def: $vgpr11
                                        ; implicit-def: $vgpr2
	s_cbranch_execnz .LBB8_224
	s_branch .LBB8_227
.LBB8_81:                               ;   in Loop: Header=BB8_6 Depth=1
	s_or_b32 exec_lo, exec_lo, s62
	s_waitcnt_vscnt null, 0x0
	s_barrier
	buffer_gl0_inv
	ds_load_b32 v2, v12 offset:3096
	v_bfrev_b32_e32 v6, -2
	s_mov_b32 s62, exec_lo
	s_waitcnt lgkmcnt(0)
	v_sub_nc_u32_e32 v7, v2, v9
	v_mov_b32_e32 v2, 0
	v_mov_b32_e32 v3, 0
	s_delay_alu instid0(VALU_DEP_3)
	v_cmpx_gt_i32_e64 v7, v8
	s_cbranch_execz .LBB8_85
; %bb.82:                               ;   in Loop: Header=BB8_6 Depth=1
	v_lshlrev_b64 v[4:5], 4, v[0:1]
	v_dual_mov_b32 v2, 0 :: v_dual_mov_b32 v11, v8
	v_mov_b32_e32 v3, 0
	v_bfrev_b32_e32 v6, -2
	s_mov_b32 s63, 0
	s_delay_alu instid0(VALU_DEP_4) | instskip(SKIP_1) | instid1(VALU_DEP_2)
	v_add_co_u32 v4, vcc_lo, v4, v17
	v_add_co_ci_u32_e32 v5, vcc_lo, v5, v18, vcc_lo
	v_add_co_u32 v4, vcc_lo, v43, v4
	s_delay_alu instid0(VALU_DEP_2)
	v_add_co_ci_u32_e32 v5, vcc_lo, v44, v5, vcc_lo
	s_set_inst_prefetch_distance 0x1
	.p2align	6
.LBB8_83:                               ;   Parent Loop BB8_6 Depth=1
                                        ; =>  This Inner Loop Header: Depth=2
	global_load_b128 v[19:22], v[4:5], off offset:-8
	v_add_co_u32 v4, s7, 0x1000, v4
	s_delay_alu instid0(VALU_DEP_1)
	v_add_co_ci_u32_e64 v5, s7, 0, v5, s7
	s_waitcnt vmcnt(0)
	v_cmp_gt_f64_e32 vcc_lo, 0, v[21:22]
	v_cmp_gt_f64_e64 s6, 0, v[19:20]
	v_xor_b32_e32 v16, 0x80000000, v20
	v_xor_b32_e32 v23, 0x80000000, v22
	s_delay_alu instid0(VALU_DEP_1) | instskip(NEXT) | instid1(VALU_DEP_3)
	v_cndmask_b32_e32 v22, v22, v23, vcc_lo
	v_cndmask_b32_e64 v20, v20, v16, s6
	v_cmp_eq_u32_e64 s6, 0x7fffffff, v6
	v_add_nc_u32_e32 v16, 1, v11
	s_delay_alu instid0(VALU_DEP_3) | instskip(NEXT) | instid1(VALU_DEP_1)
	v_add_f64 v[19:20], v[19:20], v[21:22]
	v_cmp_lt_f64_e32 vcc_lo, v[2:3], v[19:20]
	s_delay_alu instid0(VALU_DEP_4) | instskip(NEXT) | instid1(VALU_DEP_3)
	s_or_b32 vcc_lo, vcc_lo, s6
	v_dual_cndmask_b32 v6, v6, v16 :: v_dual_add_nc_u32 v11, 0x100, v11
	v_dual_cndmask_b32 v3, v3, v20 :: v_dual_cndmask_b32 v2, v2, v19
	s_delay_alu instid0(VALU_DEP_2) | instskip(NEXT) | instid1(VALU_DEP_1)
	v_cmp_ge_i32_e64 s7, v11, v7
	s_or_b32 s63, s7, s63
	s_delay_alu instid0(SALU_CYCLE_1)
	s_and_not1_b32 exec_lo, exec_lo, s63
	s_cbranch_execnz .LBB8_83
; %bb.84:                               ;   in Loop: Header=BB8_6 Depth=1
	s_set_inst_prefetch_distance 0x2
	s_or_b32 exec_lo, exec_lo, s63
.LBB8_85:                               ;   in Loop: Header=BB8_6 Depth=1
	s_delay_alu instid0(SALU_CYCLE_1) | instskip(NEXT) | instid1(SALU_CYCLE_1)
	s_or_b32 exec_lo, exec_lo, s62
	s_mov_b32 s62, exec_lo
	ds_store_b64 v35, v[2:3]
	ds_store_b32 v36, v6
	s_waitcnt lgkmcnt(0)
	s_barrier
	buffer_gl0_inv
	v_cmpx_lt_i32_e32 1, v7
	s_cbranch_execz .LBB8_121
; %bb.86:                               ;   in Loop: Header=BB8_6 Depth=1
	s_and_saveexec_b32 s7, s0
	s_cbranch_execz .LBB8_92
; %bb.87:                               ;   in Loop: Header=BB8_6 Depth=1
	ds_load_b64 v[4:5], v35 offset:1024
	ds_load_b32 v7, v36 offset:512
	s_mov_b32 s64, exec_lo
	s_waitcnt lgkmcnt(1)
	v_cmp_lt_f64_e64 s63, v[2:3], v[4:5]
	v_cmpx_nlt_f64_e32 v[2:3], v[4:5]
	s_cbranch_execz .LBB8_89
; %bb.88:                               ;   in Loop: Header=BB8_6 Depth=1
	v_cmp_eq_f64_e32 vcc_lo, v[2:3], v[4:5]
	s_waitcnt lgkmcnt(0)
	v_cmp_gt_i32_e64 s6, v6, v7
	s_delay_alu instid0(VALU_DEP_4) | instskip(NEXT) | instid1(VALU_DEP_1)
	s_and_not1_b32 s63, s63, exec_lo
	s_and_b32 s6, vcc_lo, s6
	s_delay_alu instid0(SALU_CYCLE_1) | instskip(NEXT) | instid1(SALU_CYCLE_1)
	s_and_b32 s6, s6, exec_lo
	s_or_b32 s63, s63, s6
.LBB8_89:                               ;   in Loop: Header=BB8_6 Depth=1
	s_or_b32 exec_lo, exec_lo, s64
	s_delay_alu instid0(VALU_DEP_2)
	s_and_saveexec_b32 s6, s63
	s_cbranch_execz .LBB8_91
; %bb.90:                               ;   in Loop: Header=BB8_6 Depth=1
	v_dual_mov_b32 v2, v4 :: v_dual_mov_b32 v3, v5
	s_waitcnt lgkmcnt(0)
	v_mov_b32_e32 v6, v7
	ds_store_b64 v35, v[4:5]
	ds_store_b32 v36, v7
.LBB8_91:                               ;   in Loop: Header=BB8_6 Depth=1
	s_or_b32 exec_lo, exec_lo, s6
.LBB8_92:                               ;   in Loop: Header=BB8_6 Depth=1
	s_delay_alu instid0(SALU_CYCLE_1)
	s_or_b32 exec_lo, exec_lo, s7
	s_waitcnt lgkmcnt(0)
	s_barrier
	buffer_gl0_inv
	s_and_saveexec_b32 s7, s1
	s_cbranch_execz .LBB8_98
; %bb.93:                               ;   in Loop: Header=BB8_6 Depth=1
	ds_load_b64 v[4:5], v35 offset:512
	ds_load_b32 v7, v36 offset:256
	s_mov_b32 s64, exec_lo
	s_waitcnt lgkmcnt(1)
	v_cmp_lt_f64_e64 s63, v[2:3], v[4:5]
	v_cmpx_nlt_f64_e32 v[2:3], v[4:5]
	s_cbranch_execz .LBB8_95
; %bb.94:                               ;   in Loop: Header=BB8_6 Depth=1
	v_cmp_eq_f64_e32 vcc_lo, v[2:3], v[4:5]
	s_waitcnt lgkmcnt(0)
	v_cmp_gt_i32_e64 s6, v6, v7
	s_delay_alu instid0(VALU_DEP_4) | instskip(NEXT) | instid1(VALU_DEP_1)
	s_and_not1_b32 s63, s63, exec_lo
	s_and_b32 s6, vcc_lo, s6
	s_delay_alu instid0(SALU_CYCLE_1) | instskip(NEXT) | instid1(SALU_CYCLE_1)
	s_and_b32 s6, s6, exec_lo
	s_or_b32 s63, s63, s6
.LBB8_95:                               ;   in Loop: Header=BB8_6 Depth=1
	s_or_b32 exec_lo, exec_lo, s64
	s_delay_alu instid0(VALU_DEP_2)
	s_and_saveexec_b32 s6, s63
	s_cbranch_execz .LBB8_97
; %bb.96:                               ;   in Loop: Header=BB8_6 Depth=1
	v_dual_mov_b32 v2, v4 :: v_dual_mov_b32 v3, v5
	s_waitcnt lgkmcnt(0)
	v_mov_b32_e32 v6, v7
	ds_store_b64 v35, v[4:5]
	ds_store_b32 v36, v7
.LBB8_97:                               ;   in Loop: Header=BB8_6 Depth=1
	s_or_b32 exec_lo, exec_lo, s6
.LBB8_98:                               ;   in Loop: Header=BB8_6 Depth=1
	s_delay_alu instid0(SALU_CYCLE_1)
	s_or_b32 exec_lo, exec_lo, s7
	s_waitcnt lgkmcnt(0)
	s_barrier
	buffer_gl0_inv
	s_and_b32 exec_lo, exec_lo, s2
	s_cbranch_execz .LBB8_121
; %bb.99:                               ;   in Loop: Header=BB8_6 Depth=1
	ds_load_b64 v[4:5], v35 offset:256
	ds_load_b32 v7, v36 offset:128
	s_mov_b32 s63, exec_lo
	s_waitcnt lgkmcnt(1)
	v_cmp_lt_f64_e64 s7, v[2:3], v[4:5]
	v_cmpx_nlt_f64_e32 v[2:3], v[4:5]
	s_cbranch_execz .LBB8_101
; %bb.100:                              ;   in Loop: Header=BB8_6 Depth=1
	v_cmp_eq_f64_e32 vcc_lo, v[2:3], v[4:5]
	s_waitcnt lgkmcnt(0)
	v_cmp_gt_i32_e64 s6, v6, v7
	s_delay_alu instid0(VALU_DEP_4) | instskip(NEXT) | instid1(VALU_DEP_1)
	s_and_not1_b32 s7, s7, exec_lo
	s_and_b32 s6, vcc_lo, s6
	s_delay_alu instid0(SALU_CYCLE_1) | instskip(NEXT) | instid1(SALU_CYCLE_1)
	s_and_b32 s6, s6, exec_lo
	s_or_b32 s7, s7, s6
.LBB8_101:                              ;   in Loop: Header=BB8_6 Depth=1
	s_or_b32 exec_lo, exec_lo, s63
	s_delay_alu instid0(VALU_DEP_2)
	s_and_saveexec_b32 s6, s7
	s_cbranch_execz .LBB8_103
; %bb.102:                              ;   in Loop: Header=BB8_6 Depth=1
	v_mov_b32_e32 v2, v4
	s_waitcnt lgkmcnt(0)
	v_dual_mov_b32 v6, v7 :: v_dual_mov_b32 v3, v5
	ds_store_b64 v35, v[4:5]
	ds_store_b32 v36, v7
.LBB8_103:                              ;   in Loop: Header=BB8_6 Depth=1
	s_or_b32 exec_lo, exec_lo, s6
	ds_load_b64 v[4:5], v35 offset:128
	s_waitcnt lgkmcnt(1)
	ds_load_b32 v7, v36 offset:64
	s_mov_b32 s63, exec_lo
	s_waitcnt lgkmcnt(1)
	v_cmp_lt_f64_e64 s7, v[2:3], v[4:5]
	v_cmpx_nlt_f64_e32 v[2:3], v[4:5]
	s_cbranch_execz .LBB8_105
; %bb.104:                              ;   in Loop: Header=BB8_6 Depth=1
	v_cmp_eq_f64_e32 vcc_lo, v[2:3], v[4:5]
	s_waitcnt lgkmcnt(0)
	v_cmp_gt_i32_e64 s6, v6, v7
	s_delay_alu instid0(VALU_DEP_4) | instskip(NEXT) | instid1(VALU_DEP_1)
	s_and_not1_b32 s7, s7, exec_lo
	s_and_b32 s6, vcc_lo, s6
	s_delay_alu instid0(SALU_CYCLE_1) | instskip(NEXT) | instid1(SALU_CYCLE_1)
	s_and_b32 s6, s6, exec_lo
	s_or_b32 s7, s7, s6
.LBB8_105:                              ;   in Loop: Header=BB8_6 Depth=1
	s_or_b32 exec_lo, exec_lo, s63
	s_delay_alu instid0(VALU_DEP_2)
	s_and_saveexec_b32 s6, s7
	s_cbranch_execz .LBB8_107
; %bb.106:                              ;   in Loop: Header=BB8_6 Depth=1
	v_mov_b32_e32 v2, v4
	s_waitcnt lgkmcnt(0)
	v_dual_mov_b32 v6, v7 :: v_dual_mov_b32 v3, v5
	ds_store_b64 v35, v[4:5]
	ds_store_b32 v36, v7
.LBB8_107:                              ;   in Loop: Header=BB8_6 Depth=1
	s_or_b32 exec_lo, exec_lo, s6
	ds_load_b64 v[4:5], v35 offset:64
	s_waitcnt lgkmcnt(1)
	;; [unrolled: 31-line block ×5, first 2 shown]
	ds_load_b32 v7, v36 offset:4
	s_waitcnt lgkmcnt(1)
	v_cmp_eq_f64_e32 vcc_lo, v[2:3], v[4:5]
	v_cmp_lt_f64_e64 s6, v[2:3], v[4:5]
	s_waitcnt lgkmcnt(0)
	v_cmp_gt_i32_e64 s7, v6, v7
	s_delay_alu instid0(VALU_DEP_1)
	s_and_b32 s7, vcc_lo, s7
	s_delay_alu instid0(VALU_DEP_2) | instid1(SALU_CYCLE_1)
	s_or_b32 s6, s6, s7
	s_delay_alu instid0(SALU_CYCLE_1)
	s_and_b32 exec_lo, exec_lo, s6
	s_cbranch_execz .LBB8_121
; %bb.120:                              ;   in Loop: Header=BB8_6 Depth=1
	ds_store_b64 v35, v[4:5]
	ds_store_b32 v36, v7
.LBB8_121:                              ;   in Loop: Header=BB8_6 Depth=1
	s_or_b32 exec_lo, exec_lo, s62
	s_and_saveexec_b32 s6, s4
	s_cbranch_execz .LBB8_123
; %bb.122:                              ;   in Loop: Header=BB8_6 Depth=1
	ds_load_b64 v[2:3], v12
	s_waitcnt lgkmcnt(0)
	ds_store_b64 v12, v[2:3] offset:3088
.LBB8_123:                              ;   in Loop: Header=BB8_6 Depth=1
	s_or_b32 exec_lo, exec_lo, s6
	ds_load_b32 v2, v12 offset:3096
	s_waitcnt lgkmcnt(0)
	v_cmp_le_i32_e32 vcc_lo, s46, v2
	v_readfirstlane_b32 s6, v2
	s_cbranch_vccnz .LBB8_168
; %bb.124:                              ;   in Loop: Header=BB8_6 Depth=1
	v_mov_b32_e32 v2, 0
	v_mov_b32_e32 v3, 0
	v_bfrev_b32_e32 v6, -2
	s_not_b32 s62, s6
	s_mov_b32 s63, exec_lo
	s_add_i32 s62, s62, s22
	s_delay_alu instid0(SALU_CYCLE_1)
	v_cmpx_gt_i32_e64 s62, v8
	s_cbranch_execz .LBB8_128
; %bb.125:                              ;   in Loop: Header=BB8_6 Depth=1
	v_lshlrev_b64 v[1:2], 4, v[0:1]
	s_ashr_i32 s7, s6, 31
	v_bfrev_b32_e32 v6, -2
	s_lshl_b64 s[6:7], s[6:7], 4
	s_mov_b32 s64, 0
	s_delay_alu instid0(VALU_DEP_2) | instskip(SKIP_2) | instid1(VALU_DEP_3)
	v_add_co_u32 v1, vcc_lo, v1, s6
	v_add_co_ci_u32_e32 v5, vcc_lo, s7, v2, vcc_lo
	v_mov_b32_e32 v2, 0
	v_add_co_u32 v4, vcc_lo, v41, v1
	v_mov_b32_e32 v1, v8
	v_mov_b32_e32 v3, 0
	v_add_co_ci_u32_e32 v5, vcc_lo, v42, v5, vcc_lo
	s_set_inst_prefetch_distance 0x1
	.p2align	6
.LBB8_126:                              ;   Parent Loop BB8_6 Depth=1
                                        ; =>  This Inner Loop Header: Depth=2
	global_load_b128 v[19:22], v[4:5], off
	v_add_co_u32 v4, s7, 0x1000, v4
	s_delay_alu instid0(VALU_DEP_1)
	v_add_co_ci_u32_e64 v5, s7, 0, v5, s7
	s_waitcnt vmcnt(0)
	v_cmp_gt_f64_e32 vcc_lo, 0, v[21:22]
	v_cmp_gt_f64_e64 s6, 0, v[19:20]
	v_xor_b32_e32 v7, 0x80000000, v20
	v_xor_b32_e32 v11, 0x80000000, v22
	s_delay_alu instid0(VALU_DEP_1) | instskip(NEXT) | instid1(VALU_DEP_3)
	v_cndmask_b32_e32 v22, v22, v11, vcc_lo
	v_cndmask_b32_e64 v20, v20, v7, s6
	v_add_nc_u32_e32 v7, 1, v1
	v_cmp_eq_u32_e64 s6, 0x7fffffff, v6
	s_delay_alu instid0(VALU_DEP_3) | instskip(NEXT) | instid1(VALU_DEP_1)
	v_add_f64 v[19:20], v[19:20], v[21:22]
	v_cmp_lt_f64_e32 vcc_lo, v[2:3], v[19:20]
	s_delay_alu instid0(VALU_DEP_3) | instskip(SKIP_2) | instid1(VALU_DEP_2)
	s_or_b32 vcc_lo, vcc_lo, s6
	v_dual_cndmask_b32 v6, v6, v7 :: v_dual_add_nc_u32 v1, 0x100, v1
	v_dual_cndmask_b32 v3, v3, v20 :: v_dual_cndmask_b32 v2, v2, v19
	v_cmp_le_i32_e64 s7, s62, v1
	s_delay_alu instid0(VALU_DEP_1) | instskip(NEXT) | instid1(SALU_CYCLE_1)
	s_or_b32 s64, s7, s64
	s_and_not1_b32 exec_lo, exec_lo, s64
	s_cbranch_execnz .LBB8_126
; %bb.127:                              ;   in Loop: Header=BB8_6 Depth=1
	s_set_inst_prefetch_distance 0x2
	s_or_b32 exec_lo, exec_lo, s64
.LBB8_128:                              ;   in Loop: Header=BB8_6 Depth=1
	s_delay_alu instid0(SALU_CYCLE_1)
	s_or_b32 exec_lo, exec_lo, s63
	s_cmp_lt_i32 s62, 2
	ds_store_b64 v35, v[2:3]
	ds_store_b32 v36, v6
	s_waitcnt lgkmcnt(0)
	s_barrier
	buffer_gl0_inv
	s_cbranch_scc1 .LBB8_165
; %bb.129:                              ;   in Loop: Header=BB8_6 Depth=1
	s_and_saveexec_b32 s7, s0
	s_cbranch_execz .LBB8_135
; %bb.130:                              ;   in Loop: Header=BB8_6 Depth=1
	ds_load_b64 v[4:5], v35 offset:1024
	ds_load_b32 v1, v36 offset:512
	s_mov_b32 s63, exec_lo
	s_waitcnt lgkmcnt(1)
	v_cmp_lt_f64_e64 s62, v[2:3], v[4:5]
	v_cmpx_nlt_f64_e32 v[2:3], v[4:5]
	s_cbranch_execz .LBB8_132
; %bb.131:                              ;   in Loop: Header=BB8_6 Depth=1
	v_cmp_eq_f64_e32 vcc_lo, v[2:3], v[4:5]
	s_waitcnt lgkmcnt(0)
	v_cmp_gt_i32_e64 s6, v6, v1
	s_delay_alu instid0(VALU_DEP_4) | instskip(NEXT) | instid1(VALU_DEP_1)
	s_and_not1_b32 s62, s62, exec_lo
	s_and_b32 s6, vcc_lo, s6
	s_delay_alu instid0(SALU_CYCLE_1) | instskip(NEXT) | instid1(SALU_CYCLE_1)
	s_and_b32 s6, s6, exec_lo
	s_or_b32 s62, s62, s6
.LBB8_132:                              ;   in Loop: Header=BB8_6 Depth=1
	s_or_b32 exec_lo, exec_lo, s63
	s_delay_alu instid0(VALU_DEP_2)
	s_and_saveexec_b32 s6, s62
	s_cbranch_execz .LBB8_134
; %bb.133:                              ;   in Loop: Header=BB8_6 Depth=1
	v_dual_mov_b32 v2, v4 :: v_dual_mov_b32 v3, v5
	s_waitcnt lgkmcnt(0)
	v_mov_b32_e32 v6, v1
	ds_store_b64 v35, v[4:5]
	ds_store_b32 v36, v1
.LBB8_134:                              ;   in Loop: Header=BB8_6 Depth=1
	s_or_b32 exec_lo, exec_lo, s6
.LBB8_135:                              ;   in Loop: Header=BB8_6 Depth=1
	s_delay_alu instid0(SALU_CYCLE_1)
	s_or_b32 exec_lo, exec_lo, s7
	s_waitcnt lgkmcnt(0)
	s_barrier
	buffer_gl0_inv
	s_and_saveexec_b32 s7, s1
	s_cbranch_execz .LBB8_141
; %bb.136:                              ;   in Loop: Header=BB8_6 Depth=1
	ds_load_b64 v[4:5], v35 offset:512
	ds_load_b32 v1, v36 offset:256
	s_mov_b32 s63, exec_lo
	s_waitcnt lgkmcnt(1)
	v_cmp_lt_f64_e64 s62, v[2:3], v[4:5]
	v_cmpx_nlt_f64_e32 v[2:3], v[4:5]
	s_cbranch_execz .LBB8_138
; %bb.137:                              ;   in Loop: Header=BB8_6 Depth=1
	v_cmp_eq_f64_e32 vcc_lo, v[2:3], v[4:5]
	s_waitcnt lgkmcnt(0)
	v_cmp_gt_i32_e64 s6, v6, v1
	s_delay_alu instid0(VALU_DEP_4) | instskip(NEXT) | instid1(VALU_DEP_1)
	s_and_not1_b32 s62, s62, exec_lo
	s_and_b32 s6, vcc_lo, s6
	s_delay_alu instid0(SALU_CYCLE_1) | instskip(NEXT) | instid1(SALU_CYCLE_1)
	s_and_b32 s6, s6, exec_lo
	s_or_b32 s62, s62, s6
.LBB8_138:                              ;   in Loop: Header=BB8_6 Depth=1
	s_or_b32 exec_lo, exec_lo, s63
	s_delay_alu instid0(VALU_DEP_2)
	s_and_saveexec_b32 s6, s62
	s_cbranch_execz .LBB8_140
; %bb.139:                              ;   in Loop: Header=BB8_6 Depth=1
	v_dual_mov_b32 v2, v4 :: v_dual_mov_b32 v3, v5
	s_waitcnt lgkmcnt(0)
	v_mov_b32_e32 v6, v1
	ds_store_b64 v35, v[4:5]
	ds_store_b32 v36, v1
.LBB8_140:                              ;   in Loop: Header=BB8_6 Depth=1
	s_or_b32 exec_lo, exec_lo, s6
.LBB8_141:                              ;   in Loop: Header=BB8_6 Depth=1
	s_delay_alu instid0(SALU_CYCLE_1)
	s_or_b32 exec_lo, exec_lo, s7
	s_waitcnt lgkmcnt(0)
	s_barrier
	buffer_gl0_inv
	s_and_saveexec_b32 s62, s2
	s_cbranch_execz .LBB8_164
; %bb.142:                              ;   in Loop: Header=BB8_6 Depth=1
	ds_load_b64 v[4:5], v35 offset:256
	ds_load_b32 v1, v36 offset:128
	s_mov_b32 s63, exec_lo
	s_waitcnt lgkmcnt(1)
	v_cmp_lt_f64_e64 s7, v[2:3], v[4:5]
	v_cmpx_nlt_f64_e32 v[2:3], v[4:5]
	s_cbranch_execz .LBB8_144
; %bb.143:                              ;   in Loop: Header=BB8_6 Depth=1
	v_cmp_eq_f64_e32 vcc_lo, v[2:3], v[4:5]
	s_waitcnt lgkmcnt(0)
	v_cmp_gt_i32_e64 s6, v6, v1
	s_delay_alu instid0(VALU_DEP_4) | instskip(NEXT) | instid1(VALU_DEP_1)
	s_and_not1_b32 s7, s7, exec_lo
	s_and_b32 s6, vcc_lo, s6
	s_delay_alu instid0(SALU_CYCLE_1) | instskip(NEXT) | instid1(SALU_CYCLE_1)
	s_and_b32 s6, s6, exec_lo
	s_or_b32 s7, s7, s6
.LBB8_144:                              ;   in Loop: Header=BB8_6 Depth=1
	s_or_b32 exec_lo, exec_lo, s63
	s_delay_alu instid0(VALU_DEP_2)
	s_and_saveexec_b32 s6, s7
	s_cbranch_execz .LBB8_146
; %bb.145:                              ;   in Loop: Header=BB8_6 Depth=1
	s_waitcnt lgkmcnt(0)
	v_mov_b32_e32 v6, v1
	v_dual_mov_b32 v2, v4 :: v_dual_mov_b32 v3, v5
	ds_store_b64 v35, v[4:5]
	ds_store_b32 v36, v1
.LBB8_146:                              ;   in Loop: Header=BB8_6 Depth=1
	s_or_b32 exec_lo, exec_lo, s6
	ds_load_b64 v[4:5], v35 offset:128
	s_waitcnt lgkmcnt(1)
	ds_load_b32 v1, v36 offset:64
	s_mov_b32 s63, exec_lo
	s_waitcnt lgkmcnt(1)
	v_cmp_lt_f64_e64 s7, v[2:3], v[4:5]
	v_cmpx_nlt_f64_e32 v[2:3], v[4:5]
	s_cbranch_execz .LBB8_148
; %bb.147:                              ;   in Loop: Header=BB8_6 Depth=1
	v_cmp_eq_f64_e32 vcc_lo, v[2:3], v[4:5]
	s_waitcnt lgkmcnt(0)
	v_cmp_gt_i32_e64 s6, v6, v1
	s_delay_alu instid0(VALU_DEP_4) | instskip(NEXT) | instid1(VALU_DEP_1)
	s_and_not1_b32 s7, s7, exec_lo
	s_and_b32 s6, vcc_lo, s6
	s_delay_alu instid0(SALU_CYCLE_1) | instskip(NEXT) | instid1(SALU_CYCLE_1)
	s_and_b32 s6, s6, exec_lo
	s_or_b32 s7, s7, s6
.LBB8_148:                              ;   in Loop: Header=BB8_6 Depth=1
	s_or_b32 exec_lo, exec_lo, s63
	s_delay_alu instid0(VALU_DEP_2)
	s_and_saveexec_b32 s6, s7
	s_cbranch_execz .LBB8_150
; %bb.149:                              ;   in Loop: Header=BB8_6 Depth=1
	s_waitcnt lgkmcnt(0)
	v_mov_b32_e32 v6, v1
	v_dual_mov_b32 v2, v4 :: v_dual_mov_b32 v3, v5
	ds_store_b64 v35, v[4:5]
	ds_store_b32 v36, v1
.LBB8_150:                              ;   in Loop: Header=BB8_6 Depth=1
	s_or_b32 exec_lo, exec_lo, s6
	ds_load_b64 v[4:5], v35 offset:64
	s_waitcnt lgkmcnt(1)
	;; [unrolled: 31-line block ×5, first 2 shown]
	ds_load_b32 v1, v36 offset:4
	s_waitcnt lgkmcnt(1)
	v_cmp_eq_f64_e32 vcc_lo, v[2:3], v[4:5]
	v_cmp_lt_f64_e64 s6, v[2:3], v[4:5]
	s_waitcnt lgkmcnt(0)
	v_cmp_gt_i32_e64 s7, v6, v1
	s_delay_alu instid0(VALU_DEP_1)
	s_and_b32 s7, vcc_lo, s7
	s_delay_alu instid0(VALU_DEP_2) | instid1(SALU_CYCLE_1)
	s_or_b32 s6, s6, s7
	s_delay_alu instid0(SALU_CYCLE_1)
	s_and_b32 exec_lo, exec_lo, s6
	s_cbranch_execz .LBB8_164
; %bb.163:                              ;   in Loop: Header=BB8_6 Depth=1
	ds_store_b64 v35, v[4:5]
	ds_store_b32 v36, v1
.LBB8_164:                              ;   in Loop: Header=BB8_6 Depth=1
	s_or_b32 exec_lo, exec_lo, s62
.LBB8_165:                              ;   in Loop: Header=BB8_6 Depth=1
	s_and_saveexec_b32 s6, s4
	s_cbranch_execz .LBB8_167
; %bb.166:                              ;   in Loop: Header=BB8_6 Depth=1
	ds_load_b64 v[1:2], v12 offset:3088
	ds_load_b64 v[3:4], v12
	s_waitcnt lgkmcnt(0)
	v_cmp_lt_f64_e32 vcc_lo, v[1:2], v[3:4]
	v_dual_cndmask_b32 v2, v2, v4 :: v_dual_cndmask_b32 v1, v1, v3
	ds_store_b64 v12, v[1:2] offset:3088
.LBB8_167:                              ;   in Loop: Header=BB8_6 Depth=1
	s_or_b32 exec_lo, exec_lo, s6
.LBB8_168:                              ;   in Loop: Header=BB8_6 Depth=1
	s_waitcnt lgkmcnt(0)
	s_barrier
	buffer_gl0_inv
	ds_load_b128 v[3:6], v12 offset:3072
	ds_load_b64 v[1:2], v12 offset:3088
	s_waitcnt lgkmcnt(0)
	v_div_scale_f64 v[19:20], null, v[1:2], v[1:2], v[5:6]
	s_delay_alu instid0(VALU_DEP_1) | instskip(SKIP_2) | instid1(VALU_DEP_1)
	v_rcp_f64_e32 v[21:22], v[19:20]
	s_waitcnt_depctr 0xfff
	v_fma_f64 v[23:24], -v[19:20], v[21:22], 1.0
	v_fma_f64 v[21:22], v[21:22], v[23:24], v[21:22]
	s_delay_alu instid0(VALU_DEP_1) | instskip(NEXT) | instid1(VALU_DEP_1)
	v_fma_f64 v[23:24], -v[19:20], v[21:22], 1.0
	v_fma_f64 v[21:22], v[21:22], v[23:24], v[21:22]
	v_div_scale_f64 v[23:24], vcc_lo, v[5:6], v[1:2], v[5:6]
	s_delay_alu instid0(VALU_DEP_1) | instskip(NEXT) | instid1(VALU_DEP_1)
	v_mul_f64 v[27:28], v[23:24], v[21:22]
	v_fma_f64 v[19:20], -v[19:20], v[27:28], v[23:24]
	s_delay_alu instid0(VALU_DEP_1) | instskip(SKIP_1) | instid1(VALU_DEP_2)
	v_div_fmas_f64 v[19:20], v[19:20], v[21:22], v[27:28]
	v_mul_f64 v[21:22], v[5:6], s[38:39]
	v_div_fixup_f64 v[5:6], v[19:20], v[1:2], v[5:6]
	s_delay_alu instid0(VALU_DEP_1) | instskip(NEXT) | instid1(VALU_DEP_1)
	v_mul_f64 v[5:6], v[21:22], v[5:6]
	v_cmp_ge_f64_e32 vcc_lo, v[3:4], v[5:6]
	s_cbranch_vccnz .LBB8_175
; %bb.169:                              ;   in Loop: Header=BB8_6 Depth=1
	ds_load_b32 v11, v12 offset:3096
	v_mul_f64 v[1:2], v[1:2], s[38:39]
	s_mov_b32 s62, 0
	s_mov_b32 s6, exec_lo
	s_waitcnt lgkmcnt(0)
	v_add_nc_u32_e32 v3, v11, v0
	s_delay_alu instid0(VALU_DEP_1) | instskip(NEXT) | instid1(VALU_DEP_1)
	v_ashrrev_i32_e32 v4, 31, v3
	v_lshlrev_b64 v[3:4], 4, v[3:4]
	s_delay_alu instid0(VALU_DEP_1) | instskip(NEXT) | instid1(VALU_DEP_2)
	v_add_co_u32 v3, vcc_lo, s8, v3
	v_add_co_ci_u32_e32 v4, vcc_lo, s9, v4, vcc_lo
	global_load_b128 v[3:6], v[3:4], off
	s_waitcnt vmcnt(0)
	v_cmp_gt_f64_e32 vcc_lo, 0, v[3:4]
	v_xor_b32_e32 v7, 0x80000000, v4
	v_xor_b32_e32 v16, 0x80000000, v6
	s_delay_alu instid0(VALU_DEP_2) | instskip(SKIP_1) | instid1(VALU_DEP_3)
	v_cndmask_b32_e32 v4, v4, v7, vcc_lo
	v_cmp_gt_f64_e32 vcc_lo, 0, v[5:6]
	v_cndmask_b32_e32 v6, v6, v16, vcc_lo
	s_delay_alu instid0(VALU_DEP_1) | instskip(SKIP_1) | instid1(VALU_DEP_2)
	v_add_f64 v[3:4], v[3:4], v[5:6]
	v_mov_b32_e32 v5, 2
	v_cmpx_ge_f64_e32 v[3:4], v[1:2]
	s_cbranch_execz .LBB8_174
; %bb.170:                              ;   in Loop: Header=BB8_6 Depth=1
	s_and_saveexec_b32 s7, s5
	s_cbranch_execz .LBB8_173
; %bb.171:                              ;   in Loop: Header=BB8_6 Depth=1
	v_add3_u32 v1, v8, v15, v9
	v_add3_u32 v3, v8, v0, v9
	s_delay_alu instid0(VALU_DEP_2) | instskip(NEXT) | instid1(VALU_DEP_2)
	v_ashrrev_i32_e32 v2, 31, v1
	v_ashrrev_i32_e32 v4, 31, v3
	s_delay_alu instid0(VALU_DEP_2) | instskip(NEXT) | instid1(VALU_DEP_2)
	v_lshlrev_b64 v[0:1], 4, v[1:2]
	v_lshlrev_b64 v[2:3], 4, v[3:4]
	v_mov_b32_e32 v4, v8
	s_delay_alu instid0(VALU_DEP_3) | instskip(NEXT) | instid1(VALU_DEP_4)
	v_add_co_u32 v0, vcc_lo, s52, v0
	v_add_co_ci_u32_e32 v1, vcc_lo, s53, v1, vcc_lo
	s_delay_alu instid0(VALU_DEP_4)
	v_add_co_u32 v2, vcc_lo, s52, v2
	v_add_co_ci_u32_e32 v3, vcc_lo, s53, v3, vcc_lo
	.p2align	6
.LBB8_172:                              ;   Parent Loop BB8_6 Depth=1
                                        ; =>  This Inner Loop Header: Depth=2
	global_load_b128 v[19:22], v[2:3], off
	v_add_nc_u32_e32 v4, 0x100, v4
	v_add_co_u32 v2, vcc_lo, 0x1000, v2
	v_add_co_ci_u32_e32 v3, vcc_lo, 0, v3, vcc_lo
	s_delay_alu instid0(VALU_DEP_3) | instskip(SKIP_4) | instid1(VALU_DEP_1)
	v_cmp_ge_i32_e32 vcc_lo, v4, v26
	s_or_b32 s62, vcc_lo, s62
	s_waitcnt vmcnt(0)
	global_store_b128 v[0:1], v[19:22], off
	v_add_co_u32 v0, s5, 0x1000, v0
	v_add_co_ci_u32_e64 v1, s5, 0, v1, s5
	s_and_not1_b32 exec_lo, exec_lo, s62
	s_cbranch_execnz .LBB8_172
.LBB8_173:                              ;   in Loop: Header=BB8_6 Depth=1
	s_or_b32 exec_lo, exec_lo, s7
	v_mov_b32_e32 v5, 1
	s_mov_b32 s62, exec_lo
	s_waitcnt_vscnt null, 0x0
	s_barrier
	buffer_gl0_inv
.LBB8_174:                              ;   in Loop: Header=BB8_6 Depth=1
	s_or_b32 exec_lo, exec_lo, s6
	s_branch .LBB8_176
.LBB8_175:                              ;   in Loop: Header=BB8_6 Depth=1
	v_mov_b32_e32 v5, 1
	v_mov_b32_e32 v11, v9
	s_mov_b32 s62, -1
.LBB8_176:                              ;   in Loop: Header=BB8_6 Depth=1
	s_delay_alu instid0(VALU_DEP_2) | instskip(SKIP_1) | instid1(VALU_DEP_1)
	v_add_nc_u32_e32 v0, v5, v9
	s_mov_b32 s63, exec_lo
	v_add_nc_u32_e32 v6, -1, v0
	s_delay_alu instid0(VALU_DEP_1)
	v_cmpx_ne_u32_e64 v11, v6
	s_cbranch_execz .LBB8_192
; %bb.177:                              ;   in Loop: Header=BB8_6 Depth=1
	s_and_saveexec_b32 s5, s4
	s_cbranch_execz .LBB8_179
; %bb.178:                              ;   in Loop: Header=BB8_6 Depth=1
	v_mul_lo_u32 v1, v6, s47
	v_mul_lo_u32 v19, v11, s47
	s_delay_alu instid0(VALU_DEP_2) | instskip(NEXT) | instid1(VALU_DEP_2)
	v_ashrrev_i32_e32 v2, 31, v1
	v_ashrrev_i32_e32 v20, 31, v19
	s_delay_alu instid0(VALU_DEP_2) | instskip(NEXT) | instid1(VALU_DEP_2)
	v_lshlrev_b64 v[1:2], 4, v[1:2]
	v_lshlrev_b64 v[19:20], 4, v[19:20]
	s_delay_alu instid0(VALU_DEP_2) | instskip(NEXT) | instid1(VALU_DEP_3)
	v_add_co_u32 v1, vcc_lo, s20, v1
	v_add_co_ci_u32_e32 v2, vcc_lo, s33, v2, vcc_lo
	s_delay_alu instid0(VALU_DEP_3) | instskip(NEXT) | instid1(VALU_DEP_4)
	v_add_co_u32 v19, vcc_lo, s20, v19
	v_add_co_ci_u32_e32 v20, vcc_lo, s33, v20, vcc_lo
	global_load_b128 v[1:4], v[1:2], off
	s_waitcnt vmcnt(0)
	global_store_b128 v[19:20], v[1:4], off
.LBB8_179:                              ;   in Loop: Header=BB8_6 Depth=1
	s_or_b32 exec_lo, exec_lo, s5
	v_sub_nc_u32_e32 v7, v11, v0
	s_mov_b32 s6, exec_lo
	s_delay_alu instid0(VALU_DEP_1)
	v_cmpx_gt_i32_e64 v7, v8
	s_cbranch_execz .LBB8_182
; %bb.180:                              ;   in Loop: Header=BB8_6 Depth=1
	v_add3_u32 v3, v8, v5, v9
	s_mov_b32 s7, 0
	s_delay_alu instid0(VALU_DEP_1) | instskip(NEXT) | instid1(VALU_DEP_1)
	v_mad_u64_u32 v[1:2], null, s21, v3, v[11:12]
	v_mad_u64_u32 v[3:4], null, v6, s21, v[0:1]
	v_mov_b32_e32 v4, v8
	.p2align	6
.LBB8_181:                              ;   Parent Loop BB8_6 Depth=1
                                        ; =>  This Inner Loop Header: Depth=2
	s_delay_alu instid0(VALU_DEP_1) | instskip(SKIP_2) | instid1(VALU_DEP_3)
	v_add_nc_u32_e32 v19, v3, v4
	v_ashrrev_i32_e32 v2, 31, v1
	v_add_nc_u32_e32 v4, 0x100, v4
	v_ashrrev_i32_e32 v20, 31, v19
	s_delay_alu instid0(VALU_DEP_3) | instskip(SKIP_1) | instid1(VALU_DEP_3)
	v_lshlrev_b64 v[23:24], 4, v[1:2]
	v_add_nc_u32_e32 v1, s10, v1
	v_lshlrev_b64 v[19:20], 4, v[19:20]
	s_delay_alu instid0(VALU_DEP_3) | instskip(NEXT) | instid1(VALU_DEP_1)
	v_add_co_u32 v23, s5, s20, v23
	v_add_co_ci_u32_e64 v24, s5, s33, v24, s5
	s_delay_alu instid0(VALU_DEP_3) | instskip(NEXT) | instid1(VALU_DEP_4)
	v_add_co_u32 v19, vcc_lo, s20, v19
	v_add_co_ci_u32_e32 v20, vcc_lo, s33, v20, vcc_lo
	v_cmp_ge_i32_e32 vcc_lo, v4, v7
	global_load_b128 v[19:22], v[19:20], off
	s_or_b32 s7, vcc_lo, s7
	s_waitcnt vmcnt(0)
	global_store_b128 v[23:24], v[19:22], off
	s_and_not1_b32 exec_lo, exec_lo, s7
	s_cbranch_execnz .LBB8_181
.LBB8_182:                              ;   in Loop: Header=BB8_6 Depth=1
	s_or_b32 exec_lo, exec_lo, s6
	v_xad_u32 v3, v11, -1, s22
	s_mov_b32 s6, exec_lo
	s_delay_alu instid0(VALU_DEP_1)
	v_cmpx_gt_i32_e64 v3, v8
	s_cbranch_execz .LBB8_185
; %bb.183:                              ;   in Loop: Header=BB8_6 Depth=1
	v_mul_lo_u32 v4, v6, s21
	v_mad_u64_u32 v[1:2], null, s47, v11, 1
	s_mov_b32 s7, 0
	s_delay_alu instid0(VALU_DEP_2)
	v_add3_u32 v2, v11, v4, 1
	v_mov_b32_e32 v4, v8
	.p2align	6
.LBB8_184:                              ;   Parent Loop BB8_6 Depth=1
                                        ; =>  This Inner Loop Header: Depth=2
	s_delay_alu instid0(VALU_DEP_1) | instskip(NEXT) | instid1(VALU_DEP_1)
	v_add_nc_u32_e32 v6, v2, v4
	v_ashrrev_i32_e32 v7, 31, v6
	s_delay_alu instid0(VALU_DEP_1) | instskip(NEXT) | instid1(VALU_DEP_1)
	v_lshlrev_b64 v[6:7], 4, v[6:7]
	v_add_co_u32 v6, vcc_lo, s20, v6
	s_delay_alu instid0(VALU_DEP_2) | instskip(SKIP_3) | instid1(VALU_DEP_2)
	v_add_co_ci_u32_e32 v7, vcc_lo, s33, v7, vcc_lo
	global_load_b128 v[19:22], v[6:7], off
	v_add_nc_u32_e32 v6, v1, v4
	v_add_nc_u32_e32 v4, 0x100, v4
	v_ashrrev_i32_e32 v7, 31, v6
	s_delay_alu instid0(VALU_DEP_2) | instskip(NEXT) | instid1(VALU_DEP_2)
	v_cmp_ge_i32_e32 vcc_lo, v4, v3
	v_lshlrev_b64 v[6:7], 4, v[6:7]
	s_or_b32 s7, vcc_lo, s7
	s_delay_alu instid0(VALU_DEP_1) | instskip(NEXT) | instid1(VALU_DEP_1)
	v_add_co_u32 v6, s5, s20, v6
	v_add_co_ci_u32_e64 v7, s5, s33, v7, s5
	s_waitcnt vmcnt(0)
	global_store_b128 v[6:7], v[19:22], off
	s_and_not1_b32 exec_lo, exec_lo, s7
	s_cbranch_execnz .LBB8_184
.LBB8_185:                              ;   in Loop: Header=BB8_6 Depth=1
	s_or_b32 exec_lo, exec_lo, s6
	s_delay_alu instid0(SALU_CYCLE_1)
	s_mov_b32 s5, exec_lo
	s_waitcnt_vscnt null, 0x0
	s_barrier
	buffer_gl0_inv
	v_cmpx_gt_u32_e64 v9, v8
	s_cbranch_execz .LBB8_188
; %bb.186:                              ;   in Loop: Header=BB8_6 Depth=1
	v_ashrrev_i32_e32 v1, 31, v0
	v_dual_mov_b32 v2, v45 :: v_dual_mov_b32 v3, v8
	s_mov_b32 s6, 0
	s_set_inst_prefetch_distance 0x1
	.p2align	6
.LBB8_187:                              ;   Parent Loop BB8_6 Depth=1
                                        ; =>  This Inner Loop Header: Depth=2
	s_delay_alu instid0(VALU_DEP_1) | instskip(SKIP_3) | instid1(VALU_DEP_4)
	v_ashrrev_i32_e32 v4, 31, v2
	v_add_nc_u32_e32 v6, v11, v2
	v_add_co_u32 v19, vcc_lo, v2, v0
	v_add_nc_u32_e32 v3, 0x100, v3
	v_add_co_ci_u32_e32 v20, vcc_lo, v4, v1, vcc_lo
	s_delay_alu instid0(VALU_DEP_4) | instskip(SKIP_1) | instid1(VALU_DEP_3)
	v_ashrrev_i32_e32 v7, 31, v6
	v_add_nc_u32_e32 v2, s10, v2
	v_lshlrev_b64 v[19:20], 4, v[19:20]
	s_delay_alu instid0(VALU_DEP_3) | instskip(NEXT) | instid1(VALU_DEP_2)
	v_lshlrev_b64 v[6:7], 4, v[6:7]
	v_add_co_u32 v23, vcc_lo, s50, v19
	s_delay_alu instid0(VALU_DEP_3) | instskip(NEXT) | instid1(VALU_DEP_3)
	v_add_co_ci_u32_e32 v24, vcc_lo, s51, v20, vcc_lo
	v_add_co_u32 v6, vcc_lo, s20, v6
	s_delay_alu instid0(VALU_DEP_4)
	v_add_co_ci_u32_e32 v7, vcc_lo, s33, v7, vcc_lo
	v_cmp_ge_u32_e32 vcc_lo, v3, v9
	s_clause 0x1
	global_load_b128 v[19:22], v[23:24], off
	global_load_b128 v[26:29], v[6:7], off
	s_or_b32 s6, vcc_lo, s6
	s_waitcnt vmcnt(1)
	ds_store_2addr_b64 v34, v[19:20], v[21:22] offset1:1
	s_waitcnt vmcnt(0)
	s_clause 0x1
	global_store_b128 v[23:24], v[26:29], off
	global_store_b128 v[6:7], v[19:22], off
	s_and_not1_b32 exec_lo, exec_lo, s6
	s_cbranch_execnz .LBB8_187
.LBB8_188:                              ;   in Loop: Header=BB8_6 Depth=1
	s_set_inst_prefetch_distance 0x2
	s_or_b32 exec_lo, exec_lo, s5
	v_cmp_gt_u32_e32 vcc_lo, v0, v8
	s_and_b32 exec_lo, exec_lo, vcc_lo
	s_cbranch_execz .LBB8_191
; %bb.189:                              ;   in Loop: Header=BB8_6 Depth=1
	v_add_co_u32 v2, vcc_lo, v40, v5
	v_add_co_ci_u32_e32 v4, vcc_lo, 0, v46, vcc_lo
	v_add_nc_u32_e32 v1, v40, v11
	s_delay_alu instid0(VALU_DEP_3) | instskip(NEXT) | instid1(VALU_DEP_3)
	v_add_co_u32 v3, vcc_lo, v2, v9
	v_add_co_ci_u32_e32 v4, vcc_lo, 0, v4, vcc_lo
	s_delay_alu instid0(VALU_DEP_3) | instskip(SKIP_2) | instid1(VALU_DEP_3)
	v_ashrrev_i32_e32 v2, 31, v1
	v_mov_b32_e32 v5, v8
	s_mov_b32 s5, 0
	v_lshlrev_b64 v[3:4], 4, v[3:4]
	s_mov_b64 s[6:7], s[8:9]
	v_lshlrev_b64 v[1:2], 4, v[1:2]
	s_delay_alu instid0(VALU_DEP_2) | instskip(NEXT) | instid1(VALU_DEP_3)
	v_add_co_u32 v3, vcc_lo, v3, -16
	v_add_co_ci_u32_e32 v4, vcc_lo, -1, v4, vcc_lo
	.p2align	6
.LBB8_190:                              ;   Parent Loop BB8_6 Depth=1
                                        ; =>  This Inner Loop Header: Depth=2
	s_delay_alu instid0(VALU_DEP_2) | instskip(NEXT) | instid1(VALU_DEP_2)
	v_add_co_u32 v6, vcc_lo, s6, v3
	v_add_co_ci_u32_e32 v7, vcc_lo, s7, v4, vcc_lo
	v_add_co_u32 v23, vcc_lo, s6, v1
	v_add_co_ci_u32_e32 v24, vcc_lo, s7, v2, vcc_lo
	v_add_nc_u32_e32 v5, 0x100, v5
	s_clause 0x1
	global_load_b128 v[19:22], v[6:7], off
	global_load_b128 v[26:29], v[23:24], off
	s_add_u32 s6, s6, s40
	s_addc_u32 s7, s7, s41
	v_cmp_ge_u32_e32 vcc_lo, v5, v0
	s_or_b32 s5, vcc_lo, s5
	s_waitcnt vmcnt(1)
	ds_store_2addr_b64 v33, v[19:20], v[21:22] offset1:1
	s_waitcnt vmcnt(0)
	s_clause 0x1
	global_store_b128 v[6:7], v[26:29], off
	global_store_b128 v[23:24], v[19:22], off
	s_and_not1_b32 exec_lo, exec_lo, s5
	s_cbranch_execnz .LBB8_190
.LBB8_191:                              ;   in Loop: Header=BB8_6 Depth=1
	s_waitcnt lgkmcnt(0)
	s_waitcnt_vscnt null, 0x0
	s_barrier
	buffer_gl0_inv
.LBB8_192:                              ;   in Loop: Header=BB8_6 Depth=1
	s_or_b32 exec_lo, exec_lo, s63
	s_xor_b32 s6, s62, -1
                                        ; implicit-def: $sgpr7
                                        ; implicit-def: $sgpr5
	s_delay_alu instid0(SALU_CYCLE_1) | instskip(NEXT) | instid1(SALU_CYCLE_1)
	s_and_saveexec_b32 s62, s6
	s_xor_b32 s6, exec_lo, s62
	s_cbranch_execz .LBB8_212
; %bb.193:                              ;   in Loop: Header=BB8_6 Depth=1
	v_add_nc_u32_e32 v19, v15, v48
	s_mov_b32 s7, exec_lo
	v_cmpx_gt_i32_e64 s48, v9
	s_cbranch_execz .LBB8_209
; %bb.194:                              ;   in Loop: Header=BB8_6 Depth=1
	s_delay_alu instid0(VALU_DEP_2) | instskip(SKIP_1) | instid1(VALU_DEP_2)
	v_ashrrev_i32_e32 v20, 31, v19
	v_mul_lo_u32 v16, v48, s22
	v_lshlrev_b64 v[0:1], 4, v[19:20]
	s_delay_alu instid0(VALU_DEP_1) | instskip(NEXT) | instid1(VALU_DEP_2)
	v_add_co_u32 v0, vcc_lo, s8, v0
	v_add_co_ci_u32_e32 v1, vcc_lo, s9, v1, vcc_lo
	global_load_b128 v[0:3], v[0:1], off
	v_add_nc_u32_e32 v4, v16, v48
	s_delay_alu instid0(VALU_DEP_1) | instskip(NEXT) | instid1(VALU_DEP_1)
	v_ashrrev_i32_e32 v5, 31, v4
	v_lshlrev_b64 v[4:5], 4, v[4:5]
	s_delay_alu instid0(VALU_DEP_1) | instskip(NEXT) | instid1(VALU_DEP_2)
	v_add_co_u32 v4, vcc_lo, s8, v4
	v_add_co_ci_u32_e32 v5, vcc_lo, s9, v5, vcc_lo
	global_load_b128 v[4:7], v[4:5], off
	s_waitcnt vmcnt(1)
	v_cmp_gt_f64_e32 vcc_lo, 0, v[0:1]
	v_xor_b32_e32 v21, 0x80000000, v1
	v_xor_b32_e32 v22, 0x80000000, v3
	s_delay_alu instid0(VALU_DEP_2) | instskip(SKIP_1) | instid1(VALU_DEP_3)
	v_cndmask_b32_e32 v21, v1, v21, vcc_lo
	v_cmp_gt_f64_e32 vcc_lo, 0, v[2:3]
	v_dual_mov_b32 v20, v0 :: v_dual_cndmask_b32 v23, v3, v22
	v_mov_b32_e32 v22, v2
	s_delay_alu instid0(VALU_DEP_1) | instskip(NEXT) | instid1(VALU_DEP_1)
	v_cmp_ngt_f64_e64 s5, v[20:21], v[22:23]
                                        ; implicit-def: $vgpr20_vgpr21
                                        ; implicit-def: $vgpr22_vgpr23
	s_and_saveexec_b32 s62, s5
	s_delay_alu instid0(SALU_CYCLE_1)
	s_xor_b32 s62, exec_lo, s62
	s_cbranch_execz .LBB8_196
; %bb.195:                              ;   in Loop: Header=BB8_6 Depth=1
	v_div_scale_f64 v[20:21], null, v[2:3], v[2:3], v[0:1]
	v_div_scale_f64 v[26:27], vcc_lo, v[0:1], v[2:3], v[0:1]
	s_delay_alu instid0(VALU_DEP_2) | instskip(SKIP_2) | instid1(VALU_DEP_1)
	v_rcp_f64_e32 v[22:23], v[20:21]
	s_waitcnt_depctr 0xfff
	v_fma_f64 v[24:25], -v[20:21], v[22:23], 1.0
	v_fma_f64 v[22:23], v[22:23], v[24:25], v[22:23]
	s_delay_alu instid0(VALU_DEP_1) | instskip(NEXT) | instid1(VALU_DEP_1)
	v_fma_f64 v[24:25], -v[20:21], v[22:23], 1.0
	v_fma_f64 v[22:23], v[22:23], v[24:25], v[22:23]
	s_delay_alu instid0(VALU_DEP_1) | instskip(NEXT) | instid1(VALU_DEP_1)
	v_mul_f64 v[24:25], v[26:27], v[22:23]
	v_fma_f64 v[20:21], -v[20:21], v[24:25], v[26:27]
	s_delay_alu instid0(VALU_DEP_1) | instskip(NEXT) | instid1(VALU_DEP_1)
	v_div_fmas_f64 v[20:21], v[20:21], v[22:23], v[24:25]
	v_div_fixup_f64 v[20:21], v[20:21], v[2:3], v[0:1]
	s_delay_alu instid0(VALU_DEP_1) | instskip(NEXT) | instid1(VALU_DEP_1)
	v_fma_f64 v[22:23], v[0:1], v[20:21], v[2:3]
	v_div_scale_f64 v[24:25], null, v[22:23], v[22:23], 1.0
	v_div_scale_f64 v[49:50], vcc_lo, 1.0, v[22:23], 1.0
	s_delay_alu instid0(VALU_DEP_2) | instskip(SKIP_2) | instid1(VALU_DEP_1)
	v_rcp_f64_e32 v[26:27], v[24:25]
	s_waitcnt_depctr 0xfff
	v_fma_f64 v[28:29], -v[24:25], v[26:27], 1.0
	v_fma_f64 v[26:27], v[26:27], v[28:29], v[26:27]
	s_delay_alu instid0(VALU_DEP_1) | instskip(NEXT) | instid1(VALU_DEP_1)
	v_fma_f64 v[28:29], -v[24:25], v[26:27], 1.0
	v_fma_f64 v[26:27], v[26:27], v[28:29], v[26:27]
	s_delay_alu instid0(VALU_DEP_1) | instskip(NEXT) | instid1(VALU_DEP_1)
	v_mul_f64 v[28:29], v[49:50], v[26:27]
	v_fma_f64 v[24:25], -v[24:25], v[28:29], v[49:50]
	s_delay_alu instid0(VALU_DEP_1) | instskip(SKIP_3) | instid1(VALU_DEP_3)
	v_div_fmas_f64 v[24:25], v[24:25], v[26:27], v[28:29]
	s_waitcnt vmcnt(0)
	v_fma_f64 v[26:27], v[20:21], v[4:5], v[6:7]
	v_fma_f64 v[4:5], v[20:21], v[6:7], -v[4:5]
                                        ; implicit-def: $vgpr6_vgpr7
	v_div_fixup_f64 v[22:23], v[24:25], v[22:23], 1.0
	s_delay_alu instid0(VALU_DEP_1) | instskip(NEXT) | instid1(VALU_DEP_3)
	v_mul_f64 v[20:21], v[26:27], v[22:23]
	v_mul_f64 v[22:23], v[22:23], v[4:5]
.LBB8_196:                              ;   in Loop: Header=BB8_6 Depth=1
	s_and_not1_saveexec_b32 s62, s62
	s_cbranch_execz .LBB8_198
; %bb.197:                              ;   in Loop: Header=BB8_6 Depth=1
	v_div_scale_f64 v[20:21], null, v[0:1], v[0:1], v[2:3]
	v_div_scale_f64 v[26:27], vcc_lo, v[2:3], v[0:1], v[2:3]
	s_delay_alu instid0(VALU_DEP_2) | instskip(SKIP_2) | instid1(VALU_DEP_1)
	v_rcp_f64_e32 v[22:23], v[20:21]
	s_waitcnt_depctr 0xfff
	v_fma_f64 v[24:25], -v[20:21], v[22:23], 1.0
	v_fma_f64 v[22:23], v[22:23], v[24:25], v[22:23]
	s_delay_alu instid0(VALU_DEP_1) | instskip(NEXT) | instid1(VALU_DEP_1)
	v_fma_f64 v[24:25], -v[20:21], v[22:23], 1.0
	v_fma_f64 v[22:23], v[22:23], v[24:25], v[22:23]
	s_delay_alu instid0(VALU_DEP_1) | instskip(NEXT) | instid1(VALU_DEP_1)
	v_mul_f64 v[24:25], v[26:27], v[22:23]
	v_fma_f64 v[20:21], -v[20:21], v[24:25], v[26:27]
	s_delay_alu instid0(VALU_DEP_1) | instskip(NEXT) | instid1(VALU_DEP_1)
	v_div_fmas_f64 v[20:21], v[20:21], v[22:23], v[24:25]
	v_div_fixup_f64 v[20:21], v[20:21], v[0:1], v[2:3]
	s_delay_alu instid0(VALU_DEP_1) | instskip(NEXT) | instid1(VALU_DEP_1)
	v_fma_f64 v[22:23], v[2:3], v[20:21], v[0:1]
	v_div_scale_f64 v[24:25], null, v[22:23], v[22:23], 1.0
	v_div_scale_f64 v[49:50], vcc_lo, 1.0, v[22:23], 1.0
	s_delay_alu instid0(VALU_DEP_2) | instskip(SKIP_2) | instid1(VALU_DEP_1)
	v_rcp_f64_e32 v[26:27], v[24:25]
	s_waitcnt_depctr 0xfff
	v_fma_f64 v[28:29], -v[24:25], v[26:27], 1.0
	v_fma_f64 v[26:27], v[26:27], v[28:29], v[26:27]
	s_delay_alu instid0(VALU_DEP_1) | instskip(NEXT) | instid1(VALU_DEP_1)
	v_fma_f64 v[28:29], -v[24:25], v[26:27], 1.0
	v_fma_f64 v[26:27], v[26:27], v[28:29], v[26:27]
	s_delay_alu instid0(VALU_DEP_1) | instskip(NEXT) | instid1(VALU_DEP_1)
	v_mul_f64 v[28:29], v[49:50], v[26:27]
	v_fma_f64 v[24:25], -v[24:25], v[28:29], v[49:50]
	s_delay_alu instid0(VALU_DEP_1) | instskip(SKIP_3) | instid1(VALU_DEP_3)
	v_div_fmas_f64 v[24:25], v[24:25], v[26:27], v[28:29]
	s_waitcnt vmcnt(0)
	v_fma_f64 v[26:27], v[20:21], v[6:7], v[4:5]
	v_fma_f64 v[4:5], -v[20:21], v[4:5], v[6:7]
	v_div_fixup_f64 v[22:23], v[24:25], v[22:23], 1.0
	s_delay_alu instid0(VALU_DEP_1) | instskip(NEXT) | instid1(VALU_DEP_3)
	v_mul_f64 v[20:21], v[22:23], v[26:27]
	v_mul_f64 v[22:23], v[4:5], v[22:23]
.LBB8_198:                              ;   in Loop: Header=BB8_6 Depth=1
	s_or_b32 exec_lo, exec_lo, s62
	global_load_b128 v[4:7], v[13:14], off
                                        ; implicit-def: $vgpr24_vgpr25
                                        ; implicit-def: $vgpr26_vgpr27
	s_and_saveexec_b32 s62, s5
	s_delay_alu instid0(SALU_CYCLE_1)
	s_xor_b32 s5, exec_lo, s62
	s_cbranch_execz .LBB8_200
; %bb.199:                              ;   in Loop: Header=BB8_6 Depth=1
	v_div_scale_f64 v[24:25], null, v[2:3], v[2:3], v[0:1]
	v_div_scale_f64 v[49:50], vcc_lo, v[0:1], v[2:3], v[0:1]
	s_delay_alu instid0(VALU_DEP_2) | instskip(SKIP_2) | instid1(VALU_DEP_1)
	v_rcp_f64_e32 v[26:27], v[24:25]
	s_waitcnt_depctr 0xfff
	v_fma_f64 v[28:29], -v[24:25], v[26:27], 1.0
	v_fma_f64 v[26:27], v[26:27], v[28:29], v[26:27]
	s_delay_alu instid0(VALU_DEP_1) | instskip(NEXT) | instid1(VALU_DEP_1)
	v_fma_f64 v[28:29], -v[24:25], v[26:27], 1.0
	v_fma_f64 v[26:27], v[26:27], v[28:29], v[26:27]
	s_delay_alu instid0(VALU_DEP_1) | instskip(NEXT) | instid1(VALU_DEP_1)
	v_mul_f64 v[28:29], v[49:50], v[26:27]
	v_fma_f64 v[24:25], -v[24:25], v[28:29], v[49:50]
	s_delay_alu instid0(VALU_DEP_1) | instskip(NEXT) | instid1(VALU_DEP_1)
	v_div_fmas_f64 v[24:25], v[24:25], v[26:27], v[28:29]
	v_div_fixup_f64 v[24:25], v[24:25], v[2:3], v[0:1]
	s_delay_alu instid0(VALU_DEP_1) | instskip(NEXT) | instid1(VALU_DEP_1)
	v_fma_f64 v[26:27], v[0:1], v[24:25], v[2:3]
	v_div_scale_f64 v[28:29], null, v[26:27], v[26:27], 1.0
	v_div_scale_f64 v[53:54], vcc_lo, 1.0, v[26:27], 1.0
	s_delay_alu instid0(VALU_DEP_2) | instskip(SKIP_2) | instid1(VALU_DEP_1)
	v_rcp_f64_e32 v[49:50], v[28:29]
	s_waitcnt_depctr 0xfff
	v_fma_f64 v[51:52], -v[28:29], v[49:50], 1.0
	v_fma_f64 v[49:50], v[49:50], v[51:52], v[49:50]
	s_delay_alu instid0(VALU_DEP_1) | instskip(NEXT) | instid1(VALU_DEP_1)
	v_fma_f64 v[51:52], -v[28:29], v[49:50], 1.0
	v_fma_f64 v[49:50], v[49:50], v[51:52], v[49:50]
	s_delay_alu instid0(VALU_DEP_1) | instskip(NEXT) | instid1(VALU_DEP_1)
	v_mul_f64 v[51:52], v[53:54], v[49:50]
	v_fma_f64 v[28:29], -v[28:29], v[51:52], v[53:54]
	s_delay_alu instid0(VALU_DEP_1) | instskip(SKIP_3) | instid1(VALU_DEP_3)
	v_div_fmas_f64 v[28:29], v[28:29], v[49:50], v[51:52]
	s_waitcnt vmcnt(0)
	v_fma_f64 v[49:50], v[24:25], v[4:5], v[6:7]
	v_fma_f64 v[4:5], v[24:25], v[6:7], -v[4:5]
                                        ; implicit-def: $vgpr6_vgpr7
	v_div_fixup_f64 v[26:27], v[28:29], v[26:27], 1.0
	s_delay_alu instid0(VALU_DEP_1) | instskip(NEXT) | instid1(VALU_DEP_3)
	v_mul_f64 v[24:25], v[26:27], v[49:50]
	v_mul_f64 v[26:27], v[26:27], v[4:5]
.LBB8_200:                              ;   in Loop: Header=BB8_6 Depth=1
	s_and_not1_saveexec_b32 s5, s5
	s_cbranch_execz .LBB8_202
; %bb.201:                              ;   in Loop: Header=BB8_6 Depth=1
	v_div_scale_f64 v[24:25], null, v[0:1], v[0:1], v[2:3]
	v_div_scale_f64 v[49:50], vcc_lo, v[2:3], v[0:1], v[2:3]
	s_delay_alu instid0(VALU_DEP_2) | instskip(SKIP_2) | instid1(VALU_DEP_1)
	v_rcp_f64_e32 v[26:27], v[24:25]
	s_waitcnt_depctr 0xfff
	v_fma_f64 v[28:29], -v[24:25], v[26:27], 1.0
	v_fma_f64 v[26:27], v[26:27], v[28:29], v[26:27]
	s_delay_alu instid0(VALU_DEP_1) | instskip(NEXT) | instid1(VALU_DEP_1)
	v_fma_f64 v[28:29], -v[24:25], v[26:27], 1.0
	v_fma_f64 v[26:27], v[26:27], v[28:29], v[26:27]
	s_delay_alu instid0(VALU_DEP_1) | instskip(NEXT) | instid1(VALU_DEP_1)
	v_mul_f64 v[28:29], v[49:50], v[26:27]
	v_fma_f64 v[24:25], -v[24:25], v[28:29], v[49:50]
	s_delay_alu instid0(VALU_DEP_1) | instskip(NEXT) | instid1(VALU_DEP_1)
	v_div_fmas_f64 v[24:25], v[24:25], v[26:27], v[28:29]
	v_div_fixup_f64 v[24:25], v[24:25], v[0:1], v[2:3]
	s_delay_alu instid0(VALU_DEP_1) | instskip(NEXT) | instid1(VALU_DEP_1)
	v_fma_f64 v[26:27], v[2:3], v[24:25], v[0:1]
	v_div_scale_f64 v[28:29], null, v[26:27], v[26:27], 1.0
	v_div_scale_f64 v[53:54], vcc_lo, 1.0, v[26:27], 1.0
	s_delay_alu instid0(VALU_DEP_2) | instskip(SKIP_2) | instid1(VALU_DEP_1)
	v_rcp_f64_e32 v[49:50], v[28:29]
	s_waitcnt_depctr 0xfff
	v_fma_f64 v[51:52], -v[28:29], v[49:50], 1.0
	v_fma_f64 v[49:50], v[49:50], v[51:52], v[49:50]
	s_delay_alu instid0(VALU_DEP_1) | instskip(NEXT) | instid1(VALU_DEP_1)
	v_fma_f64 v[51:52], -v[28:29], v[49:50], 1.0
	v_fma_f64 v[49:50], v[49:50], v[51:52], v[49:50]
	s_delay_alu instid0(VALU_DEP_1) | instskip(NEXT) | instid1(VALU_DEP_1)
	v_mul_f64 v[51:52], v[53:54], v[49:50]
	v_fma_f64 v[28:29], -v[28:29], v[51:52], v[53:54]
	s_delay_alu instid0(VALU_DEP_1) | instskip(SKIP_3) | instid1(VALU_DEP_3)
	v_div_fmas_f64 v[28:29], v[28:29], v[49:50], v[51:52]
	s_waitcnt vmcnt(0)
	v_fma_f64 v[49:50], v[24:25], v[6:7], v[4:5]
	v_fma_f64 v[4:5], -v[24:25], v[4:5], v[6:7]
	v_div_fixup_f64 v[26:27], v[28:29], v[26:27], 1.0
	s_delay_alu instid0(VALU_DEP_1) | instskip(NEXT) | instid1(VALU_DEP_3)
	v_mul_f64 v[24:25], v[26:27], v[49:50]
	v_mul_f64 v[26:27], v[26:27], v[4:5]
.LBB8_202:                              ;   in Loop: Header=BB8_6 Depth=1
	s_or_b32 exec_lo, exec_lo, s5
	s_waitcnt vmcnt(0)
	s_delay_alu instid0(VALU_DEP_1) | instskip(NEXT) | instid1(VALU_DEP_3)
	v_mul_f64 v[4:5], v[22:23], v[26:27]
	v_mul_f64 v[6:7], v[22:23], v[24:25]
	s_delay_alu instid0(VALU_DEP_2) | instskip(NEXT) | instid1(VALU_DEP_2)
	v_fma_f64 v[4:5], v[20:21], v[24:25], -v[4:5]
	v_fma_f64 v[6:7], v[20:21], v[26:27], v[6:7]
	s_delay_alu instid0(VALU_DEP_2) | instskip(NEXT) | instid1(VALU_DEP_2)
	v_add_f64 v[4:5], v[4:5], -1.0
	v_mul_f64 v[28:29], v[2:3], v[6:7]
	s_delay_alu instid0(VALU_DEP_2) | instskip(NEXT) | instid1(VALU_DEP_2)
	v_mul_f64 v[2:3], v[2:3], v[4:5]
	v_fma_f64 v[4:5], v[0:1], v[4:5], -v[28:29]
	s_delay_alu instid0(VALU_DEP_2) | instskip(NEXT) | instid1(VALU_DEP_2)
	v_fma_f64 v[6:7], v[0:1], v[6:7], v[2:3]
	v_cmp_gt_f64_e32 vcc_lo, 0, v[4:5]
	v_xor_b32_e32 v0, 0x80000000, v5
	s_delay_alu instid0(VALU_DEP_3) | instskip(SKIP_1) | instid1(VALU_DEP_3)
	v_cmp_gt_f64_e64 s5, 0, v[6:7]
	v_xor_b32_e32 v2, 0x80000000, v7
	v_cndmask_b32_e32 v1, v5, v0, vcc_lo
	v_cndmask_b32_e32 v0, v4, v4, vcc_lo
	s_delay_alu instid0(VALU_DEP_3) | instskip(SKIP_1) | instid1(VALU_DEP_1)
	v_cndmask_b32_e64 v3, v7, v2, s5
	v_cndmask_b32_e64 v2, v6, v6, s5
	v_cmp_ngt_f64_e32 vcc_lo, v[0:1], v[2:3]
                                        ; implicit-def: $vgpr0_vgpr1
                                        ; implicit-def: $vgpr2_vgpr3
	s_and_saveexec_b32 s5, vcc_lo
	s_delay_alu instid0(SALU_CYCLE_1)
	s_xor_b32 s5, exec_lo, s5
	s_cbranch_execz .LBB8_204
; %bb.203:                              ;   in Loop: Header=BB8_6 Depth=1
	v_div_scale_f64 v[0:1], null, v[6:7], v[6:7], v[4:5]
	v_div_scale_f64 v[49:50], vcc_lo, v[4:5], v[6:7], v[4:5]
	s_delay_alu instid0(VALU_DEP_2) | instskip(SKIP_2) | instid1(VALU_DEP_1)
	v_rcp_f64_e32 v[2:3], v[0:1]
	s_waitcnt_depctr 0xfff
	v_fma_f64 v[28:29], -v[0:1], v[2:3], 1.0
	v_fma_f64 v[2:3], v[2:3], v[28:29], v[2:3]
	s_delay_alu instid0(VALU_DEP_1) | instskip(NEXT) | instid1(VALU_DEP_1)
	v_fma_f64 v[28:29], -v[0:1], v[2:3], 1.0
	v_fma_f64 v[2:3], v[2:3], v[28:29], v[2:3]
	s_delay_alu instid0(VALU_DEP_1) | instskip(NEXT) | instid1(VALU_DEP_1)
	v_mul_f64 v[28:29], v[49:50], v[2:3]
	v_fma_f64 v[0:1], -v[0:1], v[28:29], v[49:50]
	s_delay_alu instid0(VALU_DEP_1) | instskip(NEXT) | instid1(VALU_DEP_1)
	v_div_fmas_f64 v[0:1], v[0:1], v[2:3], v[28:29]
	v_div_fixup_f64 v[0:1], v[0:1], v[6:7], v[4:5]
	s_delay_alu instid0(VALU_DEP_1) | instskip(NEXT) | instid1(VALU_DEP_1)
	v_fma_f64 v[2:3], v[4:5], v[0:1], v[6:7]
	v_div_scale_f64 v[4:5], null, v[2:3], v[2:3], 1.0
	v_div_scale_f64 v[49:50], vcc_lo, 1.0, v[2:3], 1.0
	s_delay_alu instid0(VALU_DEP_2) | instskip(SKIP_2) | instid1(VALU_DEP_1)
	v_rcp_f64_e32 v[6:7], v[4:5]
	s_waitcnt_depctr 0xfff
	v_fma_f64 v[28:29], -v[4:5], v[6:7], 1.0
	v_fma_f64 v[6:7], v[6:7], v[28:29], v[6:7]
	s_delay_alu instid0(VALU_DEP_1) | instskip(NEXT) | instid1(VALU_DEP_1)
	v_fma_f64 v[28:29], -v[4:5], v[6:7], 1.0
	v_fma_f64 v[6:7], v[6:7], v[28:29], v[6:7]
	s_delay_alu instid0(VALU_DEP_1) | instskip(NEXT) | instid1(VALU_DEP_1)
	v_mul_f64 v[28:29], v[49:50], v[6:7]
	v_fma_f64 v[4:5], -v[4:5], v[28:29], v[49:50]
	s_delay_alu instid0(VALU_DEP_1) | instskip(SKIP_1) | instid1(VALU_DEP_2)
	v_div_fmas_f64 v[4:5], v[4:5], v[6:7], v[28:29]
	v_add_f64 v[6:7], v[0:1], 0
	v_div_fixup_f64 v[2:3], v[4:5], v[2:3], 1.0
	v_fma_f64 v[4:5], v[0:1], 0, -1.0
	s_delay_alu instid0(VALU_DEP_2) | instskip(NEXT) | instid1(VALU_DEP_2)
	v_mul_f64 v[0:1], v[6:7], v[2:3]
	v_mul_f64 v[2:3], v[4:5], v[2:3]
                                        ; implicit-def: $vgpr4_vgpr5
                                        ; implicit-def: $vgpr6_vgpr7
.LBB8_204:                              ;   in Loop: Header=BB8_6 Depth=1
	s_and_not1_saveexec_b32 s5, s5
	s_cbranch_execz .LBB8_206
; %bb.205:                              ;   in Loop: Header=BB8_6 Depth=1
	v_div_scale_f64 v[0:1], null, v[4:5], v[4:5], v[6:7]
	v_div_scale_f64 v[49:50], vcc_lo, v[6:7], v[4:5], v[6:7]
	s_delay_alu instid0(VALU_DEP_2) | instskip(SKIP_2) | instid1(VALU_DEP_1)
	v_rcp_f64_e32 v[2:3], v[0:1]
	s_waitcnt_depctr 0xfff
	v_fma_f64 v[28:29], -v[0:1], v[2:3], 1.0
	v_fma_f64 v[2:3], v[2:3], v[28:29], v[2:3]
	s_delay_alu instid0(VALU_DEP_1) | instskip(NEXT) | instid1(VALU_DEP_1)
	v_fma_f64 v[28:29], -v[0:1], v[2:3], 1.0
	v_fma_f64 v[2:3], v[2:3], v[28:29], v[2:3]
	s_delay_alu instid0(VALU_DEP_1) | instskip(NEXT) | instid1(VALU_DEP_1)
	v_mul_f64 v[28:29], v[49:50], v[2:3]
	v_fma_f64 v[0:1], -v[0:1], v[28:29], v[49:50]
	s_delay_alu instid0(VALU_DEP_1) | instskip(NEXT) | instid1(VALU_DEP_1)
	v_div_fmas_f64 v[0:1], v[0:1], v[2:3], v[28:29]
	v_div_fixup_f64 v[0:1], v[0:1], v[4:5], v[6:7]
	s_delay_alu instid0(VALU_DEP_1) | instskip(NEXT) | instid1(VALU_DEP_1)
	v_fma_f64 v[2:3], v[6:7], v[0:1], v[4:5]
	v_div_scale_f64 v[4:5], null, v[2:3], v[2:3], 1.0
	v_div_scale_f64 v[49:50], vcc_lo, 1.0, v[2:3], 1.0
	s_delay_alu instid0(VALU_DEP_2) | instskip(SKIP_2) | instid1(VALU_DEP_1)
	v_rcp_f64_e32 v[6:7], v[4:5]
	s_waitcnt_depctr 0xfff
	v_fma_f64 v[28:29], -v[4:5], v[6:7], 1.0
	v_fma_f64 v[6:7], v[6:7], v[28:29], v[6:7]
	s_delay_alu instid0(VALU_DEP_1) | instskip(NEXT) | instid1(VALU_DEP_1)
	v_fma_f64 v[28:29], -v[4:5], v[6:7], 1.0
	v_fma_f64 v[6:7], v[6:7], v[28:29], v[6:7]
	s_delay_alu instid0(VALU_DEP_1) | instskip(NEXT) | instid1(VALU_DEP_1)
	v_mul_f64 v[28:29], v[49:50], v[6:7]
	v_fma_f64 v[4:5], -v[4:5], v[28:29], v[49:50]
	s_delay_alu instid0(VALU_DEP_1) | instskip(SKIP_1) | instid1(VALU_DEP_2)
	v_div_fmas_f64 v[4:5], v[4:5], v[6:7], v[28:29]
	v_fma_f64 v[6:7], v[0:1], 0, 1.0
	v_div_fixup_f64 v[2:3], v[4:5], v[2:3], 1.0
	v_add_f64 v[4:5], -v[0:1], 0
	s_delay_alu instid0(VALU_DEP_2) | instskip(NEXT) | instid1(VALU_DEP_2)
	v_mul_f64 v[0:1], v[6:7], v[2:3]
	v_mul_f64 v[2:3], v[4:5], v[2:3]
.LBB8_206:                              ;   in Loop: Header=BB8_6 Depth=1
	s_or_b32 exec_lo, exec_lo, s5
	v_add_nc_u32_e32 v49, v9, v37
	s_delay_alu instid0(VALU_DEP_1)
	v_cmp_gt_i32_e32 vcc_lo, s22, v49
	s_and_b32 exec_lo, exec_lo, vcc_lo
	s_cbranch_execz .LBB8_209
; %bb.207:                              ;   in Loop: Header=BB8_6 Depth=1
	v_mul_lo_u32 v50, s47, v9
	v_add3_u32 v4, v37, v15, v9
	v_add_nc_u32_e32 v6, v49, v16
	s_mov_b32 s62, 0
	s_delay_alu instid0(VALU_DEP_2) | instskip(NEXT) | instid1(VALU_DEP_2)
	v_ashrrev_i32_e32 v5, 31, v4
	v_ashrrev_i32_e32 v7, 31, v6
	v_add_nc_u32_e32 v15, v37, v50
	s_delay_alu instid0(VALU_DEP_3) | instskip(SKIP_1) | instid1(VALU_DEP_3)
	v_lshlrev_b64 v[28:29], 4, v[4:5]
	v_add_nc_u32_e32 v4, v47, v50
	v_ashrrev_i32_e32 v16, 31, v15
	v_lshlrev_b64 v[50:51], 4, v[6:7]
	s_delay_alu instid0(VALU_DEP_4) | instskip(NEXT) | instid1(VALU_DEP_3)
	v_add_co_u32 v6, vcc_lo, s58, v28
	v_lshlrev_b64 v[15:16], 4, v[15:16]
	v_add_co_ci_u32_e32 v7, vcc_lo, s59, v29, vcc_lo
	s_delay_alu instid0(VALU_DEP_2) | instskip(NEXT) | instid1(VALU_DEP_3)
	v_add_co_u32 v15, vcc_lo, s56, v15
	v_add_co_ci_u32_e32 v16, vcc_lo, s57, v16, vcc_lo
	v_add_co_u32 v28, vcc_lo, s58, v50
	v_add_co_ci_u32_e32 v29, vcc_lo, s59, v51, vcc_lo
.LBB8_208:                              ;   Parent Loop BB8_6 Depth=1
                                        ; =>  This Inner Loop Header: Depth=2
	global_load_b128 v[50:53], v[6:7], off offset:-8
	global_load_b128 v[54:57], v[28:29], off offset:-8
	v_ashrrev_i32_e32 v5, 31, v4
	v_add_nc_u32_e32 v49, 0x100, v49
	s_delay_alu instid0(VALU_DEP_1) | instskip(SKIP_4) | instid1(VALU_DEP_2)
	v_cmp_le_i32_e32 vcc_lo, s22, v49
	s_or_b32 s62, vcc_lo, s62
	s_waitcnt vmcnt(1)
	v_mul_f64 v[58:59], v[20:21], v[52:53]
	v_mul_f64 v[52:53], v[22:23], v[52:53]
	v_fma_f64 v[58:59], v[22:23], v[50:51], v[58:59]
	s_delay_alu instid0(VALU_DEP_2) | instskip(SKIP_1) | instid1(VALU_DEP_2)
	v_fma_f64 v[50:51], v[20:21], v[50:51], -v[52:53]
	s_waitcnt vmcnt(0)
	v_add_f64 v[52:53], v[58:59], -v[56:57]
	s_delay_alu instid0(VALU_DEP_2) | instskip(NEXT) | instid1(VALU_DEP_2)
	v_add_f64 v[50:51], v[50:51], -v[54:55]
	v_mul_f64 v[54:55], v[2:3], v[52:53]
	s_delay_alu instid0(VALU_DEP_2) | instskip(NEXT) | instid1(VALU_DEP_2)
	v_mul_f64 v[56:57], v[2:3], v[50:51]
	v_fma_f64 v[50:51], v[0:1], v[50:51], -v[54:55]
	s_delay_alu instid0(VALU_DEP_2)
	v_fma_f64 v[52:53], v[0:1], v[52:53], v[56:57]
	global_store_b128 v[15:16], v[50:53], off offset:-8
	global_load_b128 v[50:53], v[28:29], off offset:-8
	global_load_b128 v[54:57], v[6:7], off offset:-8
	s_waitcnt vmcnt(1)
	v_mul_f64 v[58:59], v[24:25], v[52:53]
	v_mul_f64 v[52:53], v[26:27], v[52:53]
	s_delay_alu instid0(VALU_DEP_2) | instskip(NEXT) | instid1(VALU_DEP_2)
	v_fma_f64 v[58:59], v[26:27], v[50:51], v[58:59]
	v_fma_f64 v[50:51], v[24:25], v[50:51], -v[52:53]
	s_waitcnt vmcnt(0)
	s_delay_alu instid0(VALU_DEP_2) | instskip(NEXT) | instid1(VALU_DEP_2)
	v_add_f64 v[52:53], v[58:59], -v[56:57]
	v_add_f64 v[50:51], v[50:51], -v[54:55]
	s_delay_alu instid0(VALU_DEP_2) | instskip(NEXT) | instid1(VALU_DEP_2)
	v_mul_f64 v[54:55], v[2:3], v[52:53]
	v_mul_f64 v[56:57], v[2:3], v[50:51]
	s_delay_alu instid0(VALU_DEP_2) | instskip(NEXT) | instid1(VALU_DEP_2)
	v_fma_f64 v[50:51], v[0:1], v[50:51], -v[54:55]
	v_fma_f64 v[52:53], v[0:1], v[52:53], v[56:57]
	v_lshlrev_b64 v[54:55], 4, v[4:5]
	v_add_nc_u32_e32 v4, 0x100, v4
	s_delay_alu instid0(VALU_DEP_2) | instskip(NEXT) | instid1(VALU_DEP_1)
	v_add_co_u32 v54, s5, s20, v54
	v_add_co_ci_u32_e64 v55, s5, s33, v55, s5
	v_add_co_u32 v15, s5, 0x1000, v15
	s_delay_alu instid0(VALU_DEP_1) | instskip(SKIP_1) | instid1(VALU_DEP_1)
	v_add_co_ci_u32_e64 v16, s5, 0, v16, s5
	v_add_co_u32 v6, s5, 0x1000, v6
	v_add_co_ci_u32_e64 v7, s5, 0, v7, s5
	v_add_co_u32 v28, s5, 0x1000, v28
	s_delay_alu instid0(VALU_DEP_1)
	v_add_co_ci_u32_e64 v29, s5, 0, v29, s5
	global_store_b128 v[54:55], v[50:53], off
	s_and_not1_b32 exec_lo, exec_lo, s62
	s_cbranch_execnz .LBB8_208
.LBB8_209:                              ;   in Loop: Header=BB8_6 Depth=1
	s_or_b32 exec_lo, exec_lo, s7
	s_and_saveexec_b32 s5, s4
	s_cbranch_execz .LBB8_211
; %bb.210:                              ;   in Loop: Header=BB8_6 Depth=1
	global_load_b128 v[0:3], v[13:14], off
	v_mul_lo_u32 v4, v9, s21
	v_ashrrev_i32_e32 v20, 31, v19
	v_add_co_u32 v7, vcc_lo, s20, v17
	v_add_co_ci_u32_e32 v15, vcc_lo, s33, v18, vcc_lo
	s_delay_alu instid0(VALU_DEP_3) | instskip(SKIP_1) | instid1(VALU_DEP_1)
	v_lshlrev_b64 v[13:14], 4, v[19:20]
	v_ashrrev_i32_e32 v5, 31, v4
	v_lshlrev_b64 v[5:6], 4, v[4:5]
	v_add_nc_u32_e32 v4, v48, v4
	s_delay_alu instid0(VALU_DEP_2) | instskip(NEXT) | instid1(VALU_DEP_3)
	v_add_co_u32 v5, vcc_lo, v7, v5
	v_add_co_ci_u32_e32 v6, vcc_lo, v15, v6, vcc_lo
	v_add_co_u32 v13, vcc_lo, s8, v13
	v_add_co_ci_u32_e32 v14, vcc_lo, s9, v14, vcc_lo
	s_waitcnt vmcnt(0)
	global_store_b128 v[5:6], v[0:3], off
	global_load_b128 v[0:3], v[13:14], off
	v_mul_lo_u32 v6, v48, s49
	v_ashrrev_i32_e32 v5, 31, v4
	s_delay_alu instid0(VALU_DEP_1) | instskip(NEXT) | instid1(VALU_DEP_3)
	v_lshlrev_b64 v[4:5], 4, v[4:5]
	v_ashrrev_i32_e32 v7, 31, v6
	s_delay_alu instid0(VALU_DEP_2) | instskip(NEXT) | instid1(VALU_DEP_2)
	v_add_co_u32 v4, vcc_lo, s20, v4
	v_lshlrev_b64 v[6:7], 4, v[6:7]
	s_delay_alu instid0(VALU_DEP_4) | instskip(NEXT) | instid1(VALU_DEP_2)
	v_add_co_ci_u32_e32 v5, vcc_lo, s33, v5, vcc_lo
	v_add_co_u32 v6, vcc_lo, s8, v6
	s_delay_alu instid0(VALU_DEP_3) | instskip(SKIP_4) | instid1(VALU_DEP_1)
	v_add_co_ci_u32_e32 v7, vcc_lo, s9, v7, vcc_lo
	s_waitcnt vmcnt(0)
	global_store_b128 v[4:5], v[0:3], off
	global_load_b128 v[0:3], v[6:7], off
	v_mul_lo_u32 v4, v48, s47
	v_ashrrev_i32_e32 v5, 31, v4
	s_delay_alu instid0(VALU_DEP_1) | instskip(NEXT) | instid1(VALU_DEP_1)
	v_lshlrev_b64 v[4:5], 4, v[4:5]
	v_add_co_u32 v4, vcc_lo, s20, v4
	s_delay_alu instid0(VALU_DEP_2)
	v_add_co_ci_u32_e32 v5, vcc_lo, s33, v5, vcc_lo
	s_waitcnt vmcnt(0)
	global_store_b128 v[4:5], v[0:3], off
.LBB8_211:                              ;   in Loop: Header=BB8_6 Depth=1
	s_or_b32 exec_lo, exec_lo, s5
	s_mov_b32 s5, 0
	s_mov_b32 s7, 2
	s_waitcnt_vscnt null, 0x0
	s_barrier
	buffer_gl0_inv
                                        ; implicit-def: $vgpr13_vgpr14
                                        ; implicit-def: $vgpr25
                                        ; implicit-def: $vgpr15_vgpr16
.LBB8_212:                              ;   in Loop: Header=BB8_6 Depth=1
	s_or_saveexec_b32 s6, s6
	v_mov_b32_e32 v2, s7
	s_xor_b32 exec_lo, exec_lo, s6
	s_cbranch_execz .LBB8_223
; %bb.213:                              ;   in Loop: Header=BB8_6 Depth=1
	global_load_b128 v[0:3], v[13:14], off
	s_waitcnt vmcnt(0)
	v_cmp_gt_f64_e32 vcc_lo, 0, v[0:1]
	v_xor_b32_e32 v5, 0x80000000, v1
	v_mov_b32_e32 v4, v0
	v_xor_b32_e32 v6, 0x80000000, v3
	s_delay_alu instid0(VALU_DEP_3) | instskip(SKIP_1) | instid1(VALU_DEP_3)
	v_cndmask_b32_e32 v5, v1, v5, vcc_lo
	v_cmp_gt_f64_e32 vcc_lo, 0, v[2:3]
	v_dual_cndmask_b32 v7, v3, v6 :: v_dual_mov_b32 v6, v2
	s_delay_alu instid0(VALU_DEP_1) | instskip(SKIP_1) | instid1(SALU_CYCLE_1)
	v_cmp_ngt_f64_e32 vcc_lo, v[4:5], v[6:7]
                                        ; implicit-def: $vgpr4_vgpr5
                                        ; implicit-def: $vgpr6_vgpr7
	s_and_saveexec_b32 s7, vcc_lo
	s_xor_b32 s7, exec_lo, s7
	s_cbranch_execnz .LBB8_217
; %bb.214:                              ;   in Loop: Header=BB8_6 Depth=1
	s_and_not1_saveexec_b32 s7, s7
	s_cbranch_execnz .LBB8_218
.LBB8_215:                              ;   in Loop: Header=BB8_6 Depth=1
	s_or_b32 exec_lo, exec_lo, s7
	s_and_saveexec_b32 s7, s4
	s_cbranch_execnz .LBB8_219
.LBB8_216:                              ;   in Loop: Header=BB8_6 Depth=1
	s_or_b32 exec_lo, exec_lo, s7
	s_and_saveexec_b32 s7, s3
	s_cbranch_execnz .LBB8_220
	s_branch .LBB8_222
.LBB8_217:                              ;   in Loop: Header=BB8_6 Depth=1
	v_div_scale_f64 v[4:5], null, v[2:3], v[2:3], v[0:1]
	v_div_scale_f64 v[18:19], vcc_lo, v[0:1], v[2:3], v[0:1]
	s_delay_alu instid0(VALU_DEP_2) | instskip(SKIP_2) | instid1(VALU_DEP_1)
	v_rcp_f64_e32 v[6:7], v[4:5]
	s_waitcnt_depctr 0xfff
	v_fma_f64 v[16:17], -v[4:5], v[6:7], 1.0
	v_fma_f64 v[6:7], v[6:7], v[16:17], v[6:7]
	s_delay_alu instid0(VALU_DEP_1) | instskip(NEXT) | instid1(VALU_DEP_1)
	v_fma_f64 v[16:17], -v[4:5], v[6:7], 1.0
	v_fma_f64 v[6:7], v[6:7], v[16:17], v[6:7]
	s_delay_alu instid0(VALU_DEP_1) | instskip(NEXT) | instid1(VALU_DEP_1)
	v_mul_f64 v[16:17], v[18:19], v[6:7]
	v_fma_f64 v[4:5], -v[4:5], v[16:17], v[18:19]
	s_delay_alu instid0(VALU_DEP_1) | instskip(NEXT) | instid1(VALU_DEP_1)
	v_div_fmas_f64 v[4:5], v[4:5], v[6:7], v[16:17]
	v_div_fixup_f64 v[4:5], v[4:5], v[2:3], v[0:1]
	s_delay_alu instid0(VALU_DEP_1) | instskip(NEXT) | instid1(VALU_DEP_1)
	v_fma_f64 v[0:1], v[0:1], v[4:5], v[2:3]
	v_div_scale_f64 v[2:3], null, v[0:1], v[0:1], 1.0
	v_div_scale_f64 v[18:19], vcc_lo, 1.0, v[0:1], 1.0
	s_delay_alu instid0(VALU_DEP_2) | instskip(SKIP_2) | instid1(VALU_DEP_1)
	v_rcp_f64_e32 v[6:7], v[2:3]
	s_waitcnt_depctr 0xfff
	v_fma_f64 v[16:17], -v[2:3], v[6:7], 1.0
	v_fma_f64 v[6:7], v[6:7], v[16:17], v[6:7]
	s_delay_alu instid0(VALU_DEP_1) | instskip(NEXT) | instid1(VALU_DEP_1)
	v_fma_f64 v[16:17], -v[2:3], v[6:7], 1.0
	v_fma_f64 v[6:7], v[6:7], v[16:17], v[6:7]
	s_delay_alu instid0(VALU_DEP_1) | instskip(NEXT) | instid1(VALU_DEP_1)
	v_mul_f64 v[16:17], v[18:19], v[6:7]
	v_fma_f64 v[2:3], -v[2:3], v[16:17], v[18:19]
	s_delay_alu instid0(VALU_DEP_1) | instskip(SKIP_1) | instid1(VALU_DEP_2)
	v_div_fmas_f64 v[2:3], v[2:3], v[6:7], v[16:17]
	v_add_f64 v[6:7], v[4:5], 0
	v_div_fixup_f64 v[0:1], v[2:3], v[0:1], 1.0
	v_fma_f64 v[2:3], v[4:5], 0, -1.0
	s_delay_alu instid0(VALU_DEP_2) | instskip(NEXT) | instid1(VALU_DEP_2)
	v_mul_f64 v[4:5], v[6:7], v[0:1]
	v_mul_f64 v[6:7], v[2:3], v[0:1]
                                        ; implicit-def: $vgpr0_vgpr1
	s_and_not1_saveexec_b32 s7, s7
	s_cbranch_execz .LBB8_215
.LBB8_218:                              ;   in Loop: Header=BB8_6 Depth=1
	v_div_scale_f64 v[4:5], null, v[0:1], v[0:1], v[2:3]
	v_div_scale_f64 v[18:19], vcc_lo, v[2:3], v[0:1], v[2:3]
	s_delay_alu instid0(VALU_DEP_2) | instskip(SKIP_2) | instid1(VALU_DEP_1)
	v_rcp_f64_e32 v[6:7], v[4:5]
	s_waitcnt_depctr 0xfff
	v_fma_f64 v[16:17], -v[4:5], v[6:7], 1.0
	v_fma_f64 v[6:7], v[6:7], v[16:17], v[6:7]
	s_delay_alu instid0(VALU_DEP_1) | instskip(NEXT) | instid1(VALU_DEP_1)
	v_fma_f64 v[16:17], -v[4:5], v[6:7], 1.0
	v_fma_f64 v[6:7], v[6:7], v[16:17], v[6:7]
	s_delay_alu instid0(VALU_DEP_1) | instskip(NEXT) | instid1(VALU_DEP_1)
	v_mul_f64 v[16:17], v[18:19], v[6:7]
	v_fma_f64 v[4:5], -v[4:5], v[16:17], v[18:19]
	s_delay_alu instid0(VALU_DEP_1) | instskip(NEXT) | instid1(VALU_DEP_1)
	v_div_fmas_f64 v[4:5], v[4:5], v[6:7], v[16:17]
	v_div_fixup_f64 v[4:5], v[4:5], v[0:1], v[2:3]
	s_delay_alu instid0(VALU_DEP_1) | instskip(NEXT) | instid1(VALU_DEP_1)
	v_fma_f64 v[0:1], v[2:3], v[4:5], v[0:1]
	v_div_scale_f64 v[2:3], null, v[0:1], v[0:1], 1.0
	v_div_scale_f64 v[18:19], vcc_lo, 1.0, v[0:1], 1.0
	s_delay_alu instid0(VALU_DEP_2) | instskip(SKIP_2) | instid1(VALU_DEP_1)
	v_rcp_f64_e32 v[6:7], v[2:3]
	s_waitcnt_depctr 0xfff
	v_fma_f64 v[16:17], -v[2:3], v[6:7], 1.0
	v_fma_f64 v[6:7], v[6:7], v[16:17], v[6:7]
	s_delay_alu instid0(VALU_DEP_1) | instskip(NEXT) | instid1(VALU_DEP_1)
	v_fma_f64 v[16:17], -v[2:3], v[6:7], 1.0
	v_fma_f64 v[6:7], v[6:7], v[16:17], v[6:7]
	s_delay_alu instid0(VALU_DEP_1) | instskip(NEXT) | instid1(VALU_DEP_1)
	v_mul_f64 v[16:17], v[18:19], v[6:7]
	v_fma_f64 v[2:3], -v[2:3], v[16:17], v[18:19]
	s_delay_alu instid0(VALU_DEP_1) | instskip(SKIP_1) | instid1(VALU_DEP_2)
	v_div_fmas_f64 v[2:3], v[2:3], v[6:7], v[16:17]
	v_fma_f64 v[6:7], v[4:5], 0, 1.0
	v_div_fixup_f64 v[0:1], v[2:3], v[0:1], 1.0
	v_add_f64 v[2:3], -v[4:5], 0
	s_delay_alu instid0(VALU_DEP_2) | instskip(NEXT) | instid1(VALU_DEP_2)
	v_mul_f64 v[4:5], v[6:7], v[0:1]
	v_mul_f64 v[6:7], v[2:3], v[0:1]
	s_or_b32 exec_lo, exec_lo, s7
	s_and_saveexec_b32 s7, s4
	s_cbranch_execz .LBB8_216
.LBB8_219:                              ;   in Loop: Header=BB8_6 Depth=1
	global_load_b128 v[0:3], v[13:14], off
	v_mul_lo_u32 v13, v9, s47
	s_delay_alu instid0(VALU_DEP_1) | instskip(NEXT) | instid1(VALU_DEP_1)
	v_ashrrev_i32_e32 v14, 31, v13
	v_lshlrev_b64 v[13:14], 4, v[13:14]
	s_delay_alu instid0(VALU_DEP_1) | instskip(NEXT) | instid1(VALU_DEP_2)
	v_add_co_u32 v13, vcc_lo, s20, v13
	v_add_co_ci_u32_e32 v14, vcc_lo, s33, v14, vcc_lo
	s_waitcnt vmcnt(0)
	global_store_b128 v[13:14], v[0:3], off
	s_or_b32 exec_lo, exec_lo, s7
	s_and_saveexec_b32 s7, s3
	s_cbranch_execz .LBB8_222
.LBB8_220:                              ;   in Loop: Header=BB8_6 Depth=1
	v_mad_u64_u32 v[0:1], null, s47, v9, 1
	v_add3_u32 v1, v15, v9, 1
	v_mov_b32_e32 v2, v8
	s_mov_b32 s62, 0
	s_set_inst_prefetch_distance 0x1
	.p2align	6
.LBB8_221:                              ;   Parent Loop BB8_6 Depth=1
                                        ; =>  This Inner Loop Header: Depth=2
	s_delay_alu instid0(VALU_DEP_1) | instskip(NEXT) | instid1(VALU_DEP_1)
	v_add_nc_u32_e32 v13, v1, v2
	v_ashrrev_i32_e32 v14, 31, v13
	s_delay_alu instid0(VALU_DEP_1) | instskip(NEXT) | instid1(VALU_DEP_1)
	v_lshlrev_b64 v[13:14], 4, v[13:14]
	v_add_co_u32 v13, vcc_lo, s8, v13
	s_delay_alu instid0(VALU_DEP_2) | instskip(SKIP_4) | instid1(VALU_DEP_2)
	v_add_co_ci_u32_e32 v14, vcc_lo, s9, v14, vcc_lo
	global_load_b128 v[13:16], v[13:14], off
	s_waitcnt vmcnt(0)
	v_mul_f64 v[17:18], v[6:7], v[15:16]
	v_mul_f64 v[19:20], v[4:5], v[15:16]
	v_fma_f64 v[15:16], v[4:5], v[13:14], -v[17:18]
	s_delay_alu instid0(VALU_DEP_2) | instskip(SKIP_2) | instid1(VALU_DEP_2)
	v_fma_f64 v[17:18], v[6:7], v[13:14], v[19:20]
	v_add_nc_u32_e32 v13, v0, v2
	v_add_nc_u32_e32 v2, 0x100, v2
	v_ashrrev_i32_e32 v14, 31, v13
	s_delay_alu instid0(VALU_DEP_2) | instskip(NEXT) | instid1(VALU_DEP_2)
	v_cmp_ge_i32_e32 vcc_lo, v2, v25
	v_lshlrev_b64 v[13:14], 4, v[13:14]
	s_or_b32 s62, vcc_lo, s62
	s_delay_alu instid0(VALU_DEP_1) | instskip(NEXT) | instid1(VALU_DEP_1)
	v_add_co_u32 v13, s3, s20, v13
	v_add_co_ci_u32_e64 v14, s3, s33, v14, s3
	global_store_b128 v[13:14], v[15:18], off
	s_and_not1_b32 exec_lo, exec_lo, s62
	s_cbranch_execnz .LBB8_221
.LBB8_222:                              ;   in Loop: Header=BB8_6 Depth=1
	s_set_inst_prefetch_distance 0x2
	s_or_b32 exec_lo, exec_lo, s7
	v_mov_b32_e32 v2, 1
	s_or_b32 s5, s5, exec_lo
	s_waitcnt_vscnt null, 0x0
	s_barrier
	buffer_gl0_inv
.LBB8_223:                              ;   in Loop: Header=BB8_6 Depth=1
	s_or_b32 exec_lo, exec_lo, s6
	s_branch .LBB8_227
.LBB8_224:                              ;   in Loop: Header=BB8_6 Depth=1
	ds_load_b32 v0, v12 offset:3100
	s_waitcnt lgkmcnt(0)
	v_readfirstlane_b32 s3, v0
	s_delay_alu instid0(VALU_DEP_1) | instskip(SKIP_1) | instid1(SALU_CYCLE_1)
	s_cmp_eq_u32 s3, 0
	s_cselect_b32 s3, -1, 0
	s_and_b32 s5, s4, s3
	s_delay_alu instid0(SALU_CYCLE_1)
	s_and_saveexec_b32 s3, s5
	s_cbranch_execz .LBB8_226
; %bb.225:                              ;   in Loop: Header=BB8_6 Depth=1
	ds_store_b32 v12, v48 offset:3100
.LBB8_226:                              ;   in Loop: Header=BB8_6 Depth=1
	s_or_b32 exec_lo, exec_lo, s3
	v_dual_mov_b32 v2, 1 :: v_dual_mov_b32 v11, v9
	s_mov_b32 s5, -1
.LBB8_227:                              ;   in Loop: Header=BB8_6 Depth=1
	s_and_saveexec_b32 s3, s4
	s_cbranch_execz .LBB8_4
; %bb.228:                              ;   in Loop: Header=BB8_6 Depth=1
	v_lshlrev_b64 v[0:1], 2, v[9:10]
	s_xor_b32 s5, s5, -1
	s_delay_alu instid0(VALU_DEP_1) | instskip(NEXT) | instid1(VALU_DEP_2)
	v_add_co_u32 v0, vcc_lo, s42, v0
	v_add_co_ci_u32_e32 v1, vcc_lo, s43, v1, vcc_lo
	s_and_saveexec_b32 s6, s5
	s_delay_alu instid0(SALU_CYCLE_1)
	s_xor_b32 s5, exec_lo, s6
	s_cbranch_execz .LBB8_230
; %bb.229:                              ;   in Loop: Header=BB8_6 Depth=1
	v_not_b32_e32 v3, v11
                                        ; implicit-def: $vgpr11
	s_delay_alu instid0(VALU_DEP_1)
	v_mov_b32_e32 v4, v3
	global_store_b64 v[0:1], v[3:4], off
                                        ; implicit-def: $vgpr0_vgpr1
.LBB8_230:                              ;   in Loop: Header=BB8_6 Depth=1
	s_and_not1_saveexec_b32 s5, s5
	s_cbranch_execz .LBB8_4
; %bb.231:                              ;   in Loop: Header=BB8_6 Depth=1
	v_add_nc_u32_e32 v3, 1, v11
	global_store_b32 v[0:1], v3, off
	s_branch .LBB8_4
.LBB8_232:
	s_or_b32 exec_lo, exec_lo, s11
	s_and_saveexec_b32 s0, s4
	s_cbranch_execz .LBB8_234
.LBB8_233:
	v_mov_b32_e32 v0, 0
	s_lshl_b64 s[2:3], s[26:27], 2
	s_delay_alu instid0(SALU_CYCLE_1)
	s_add_u32 s4, s16, s2
	s_addc_u32 s5, s17, s3
	ds_load_b32 v1, v0 offset:3100
	s_add_u32 s2, s14, s2
	s_addc_u32 s3, s15, s3
	global_store_b32 v0, v9, s[4:5]
	s_waitcnt lgkmcnt(0)
	global_store_b32 v0, v1, s[2:3]
.LBB8_234:
	s_or_b32 exec_lo, exec_lo, s0
	s_delay_alu instid0(SALU_CYCLE_1)
	s_mov_b32 s10, exec_lo
	v_cmpx_gt_i32_e64 s22, v9
	s_cbranch_execz .LBB8_255
; %bb.235:
	v_ashrrev_i32_e32 v10, 31, v9
	s_add_u32 s0, s30, s34
	s_addc_u32 s1, s31, s35
	s_mov_b32 s2, s23
	s_mov_b32 s4, s21
	v_lshlrev_b64 v[2:3], 4, v[9:10]
	s_ashr_i32 s3, s23, 31
	s_ashr_i32 s5, s21, 31
	s_lshl_b64 s[2:3], s[2:3], 4
	s_lshl_b64 s[4:5], s[4:5], 4
	v_cmp_ne_u32_e32 vcc_lo, 0, v9
	v_add_co_u32 v0, s0, s0, v2
	s_delay_alu instid0(VALU_DEP_1) | instskip(SKIP_1) | instid1(VALU_DEP_3)
	v_add_co_ci_u32_e64 v4, s0, s1, v3, s0
	v_mov_b32_e32 v1, 0
	v_add_co_u32 v0, s0, v0, v32
	s_delay_alu instid0(VALU_DEP_1) | instskip(SKIP_1) | instid1(VALU_DEP_2)
	v_add_co_ci_u32_e64 v4, s0, 0, v4, s0
	s_mov_b32 s11, 0
	v_add_co_u32 v0, s0, v0, s18
	s_delay_alu instid0(VALU_DEP_1) | instskip(SKIP_3) | instid1(VALU_DEP_1)
	v_add_co_ci_u32_e64 v4, s0, s19, v4, s0
	s_add_u32 s0, s24, s28
	s_addc_u32 s1, s25, s29
	v_add_co_u32 v5, s0, s0, v2
	v_add_co_ci_u32_e64 v6, s0, s1, v3, s0
	v_add_co_u32 v2, s0, v0, 8
	s_delay_alu instid0(VALU_DEP_1) | instskip(NEXT) | instid1(VALU_DEP_4)
	v_add_co_ci_u32_e64 v3, s0, 0, v4, s0
	v_add_co_u32 v4, s0, v5, 8
	s_delay_alu instid0(VALU_DEP_1) | instskip(SKIP_3) | instid1(SALU_CYCLE_1)
	v_add_co_ci_u32_e64 v5, s0, 0, v6, s0
	v_mov_b32_e32 v6, v9
	s_ashr_i32 s1, s22, 31
	s_mov_b32 s0, s22
	s_lshl_b64 s[6:7], s[0:1], 4
	s_branch .LBB8_237
.LBB8_236:                              ;   in Loop: Header=BB8_237 Depth=1
	s_or_b32 exec_lo, exec_lo, s1
	v_add_nc_u32_e32 v6, s23, v6
	v_add_co_u32 v2, s0, v2, s2
	s_delay_alu instid0(VALU_DEP_1) | instskip(NEXT) | instid1(VALU_DEP_3)
	v_add_co_ci_u32_e64 v3, s0, s3, v3, s0
	v_cmp_le_i32_e64 s0, s22, v6
	v_add_co_u32 v4, s1, v4, s2
	s_delay_alu instid0(VALU_DEP_1) | instskip(NEXT) | instid1(VALU_DEP_3)
	v_add_co_ci_u32_e64 v5, s1, s3, v5, s1
	s_or_b32 s11, s0, s11
	s_delay_alu instid0(SALU_CYCLE_1)
	s_and_not1_b32 exec_lo, exec_lo, s11
	s_cbranch_execz .LBB8_255
.LBB8_237:                              ; =>This Loop Header: Depth=1
                                        ;     Child Loop BB8_240 Depth 2
                                        ;       Child Loop BB8_243 Depth 3
                                        ;         Child Loop BB8_245 Depth 4
                                        ;     Child Loop BB8_251 Depth 2
                                        ;       Child Loop BB8_253 Depth 3
	v_sub_nc_u32_e32 v7, s22, v6
	s_mov_b32 s12, exec_lo
	s_delay_alu instid0(VALU_DEP_1) | instskip(NEXT) | instid1(VALU_DEP_1)
	v_min_i32_e32 v26, s23, v7
	v_add_nc_u32_e32 v10, v26, v6
	v_cmpx_lt_i32_e32 0, v26
	s_cbranch_execz .LBB8_247
; %bb.238:                              ;   in Loop: Header=BB8_237 Depth=1
	v_dual_mov_b32 v12, v5 :: v_dual_mov_b32 v11, v4
	v_dual_mov_b32 v14, v3 :: v_dual_mov_b32 v13, v2
	v_mov_b32_e32 v15, v6
	s_mov_b32 s13, 0
	s_branch .LBB8_240
.LBB8_239:                              ;   in Loop: Header=BB8_240 Depth=2
	s_or_b32 exec_lo, exec_lo, s14
	v_add_nc_u32_e32 v15, 1, v15
	v_add_co_u32 v13, s0, v13, 16
	s_delay_alu instid0(VALU_DEP_1) | instskip(NEXT) | instid1(VALU_DEP_3)
	v_add_co_ci_u32_e64 v14, s0, 0, v14, s0
	v_cmp_ge_i32_e64 s0, v15, v10
	v_add_co_u32 v11, s1, v11, 16
	s_delay_alu instid0(VALU_DEP_1) | instskip(NEXT) | instid1(VALU_DEP_3)
	v_add_co_ci_u32_e64 v12, s1, 0, v12, s1
	s_or_b32 s13, s0, s13
	s_delay_alu instid0(SALU_CYCLE_1)
	s_and_not1_b32 exec_lo, exec_lo, s13
	s_cbranch_execz .LBB8_247
.LBB8_240:                              ;   Parent Loop BB8_237 Depth=1
                                        ; =>  This Loop Header: Depth=2
                                        ;       Child Loop BB8_243 Depth 3
                                        ;         Child Loop BB8_245 Depth 4
	s_delay_alu instid0(VALU_DEP_1) | instskip(SKIP_1) | instid1(VALU_DEP_1)
	v_sub_nc_u32_e32 v27, v10, v15
	s_mov_b32 s14, exec_lo
	v_cmpx_gt_i32_e64 v27, v8
	s_cbranch_execz .LBB8_239
; %bb.241:                              ;   in Loop: Header=BB8_240 Depth=2
	v_mul_lo_u32 v17, v15, s21
	v_ashrrev_i32_e32 v16, 31, v15
	s_mov_b32 s15, 0
	s_delay_alu instid0(VALU_DEP_1) | instskip(NEXT) | instid1(VALU_DEP_3)
	v_lshlrev_b64 v[19:20], 4, v[15:16]
	v_ashrrev_i32_e32 v18, 31, v17
	s_delay_alu instid0(VALU_DEP_2) | instskip(NEXT) | instid1(VALU_DEP_2)
	v_add_co_u32 v0, s0, s20, v19
	v_lshlrev_b64 v[21:22], 4, v[17:18]
	s_delay_alu instid0(VALU_DEP_4) | instskip(SKIP_1) | instid1(VALU_DEP_3)
	v_add_co_ci_u32_e64 v18, s0, s33, v20, s0
	v_dual_mov_b32 v17, v14 :: v_dual_mov_b32 v16, v13
	v_add_co_u32 v28, s0, v0, v21
	s_delay_alu instid0(VALU_DEP_1)
	v_add_co_ci_u32_e64 v29, s0, v18, v22, s0
	v_mov_b32_e32 v0, v8
	s_branch .LBB8_243
.LBB8_242:                              ;   in Loop: Header=BB8_243 Depth=3
	s_or_b32 exec_lo, exec_lo, s16
	v_lshlrev_b64 v[22:23], 4, v[0:1]
	s_delay_alu instid0(VALU_DEP_2) | instskip(SKIP_4) | instid1(VALU_DEP_1)
	v_fma_f64 v[34:35], 0x80000000, v[18:19], -v[20:21]
	v_fma_f64 v[20:21], v[20:21], 0, -v[18:19]
	v_add_nc_u32_e32 v0, 0x100, v0
	v_add_co_u32 v16, s1, 0x1000, v16
	v_add_co_u32 v32, s0, v28, v22
	v_add_co_ci_u32_e64 v33, s0, v29, v23, s0
	s_delay_alu instid0(VALU_DEP_4)
	v_cmp_ge_i32_e64 s0, v0, v27
	v_add_co_ci_u32_e64 v17, s1, 0, v17, s1
	global_load_b128 v[22:25], v[32:33], off
	s_or_b32 s15, s0, s15
	s_waitcnt vmcnt(0)
	v_fma_f64 v[18:19], 0x80000000, v[24:25], v[22:23]
	v_fma_f64 v[22:23], v[22:23], 0, v[24:25]
	s_delay_alu instid0(VALU_DEP_2) | instskip(NEXT) | instid1(VALU_DEP_2)
	v_add_f64 v[18:19], v[34:35], v[18:19]
	v_add_f64 v[20:21], v[20:21], v[22:23]
	global_store_b128 v[32:33], v[18:21], off
	s_and_not1_b32 exec_lo, exec_lo, s15
	s_cbranch_execz .LBB8_239
.LBB8_243:                              ;   Parent Loop BB8_237 Depth=1
                                        ;     Parent Loop BB8_240 Depth=2
                                        ; =>    This Loop Header: Depth=3
                                        ;         Child Loop BB8_245 Depth 4
	v_mov_b32_e32 v18, 0
	v_mov_b32_e32 v19, 0
	s_delay_alu instid0(VALU_DEP_1)
	v_dual_mov_b32 v21, v19 :: v_dual_mov_b32 v20, v18
	s_and_saveexec_b32 s16, vcc_lo
	s_cbranch_execz .LBB8_242
; %bb.244:                              ;   in Loop: Header=BB8_243 Depth=3
	v_dual_mov_b32 v18, 0 :: v_dual_mov_b32 v23, v12
	v_dual_mov_b32 v19, 0 :: v_dual_mov_b32 v22, v11
	v_mov_b32_e32 v32, v9
	v_dual_mov_b32 v25, v17 :: v_dual_mov_b32 v24, v16
	s_delay_alu instid0(VALU_DEP_3)
	v_dual_mov_b32 v21, v19 :: v_dual_mov_b32 v20, v18
	s_mov_b32 s17, 0
	.p2align	6
.LBB8_245:                              ;   Parent Loop BB8_237 Depth=1
                                        ;     Parent Loop BB8_240 Depth=2
                                        ;       Parent Loop BB8_243 Depth=3
                                        ; =>      This Inner Loop Header: Depth=4
	global_load_b128 v[33:36], v[22:23], off offset:-8
	global_load_b128 v[37:40], v[24:25], off offset:-8
	v_add_nc_u32_e32 v32, -1, v32
	v_add_co_u32 v24, s0, v24, s4
	s_delay_alu instid0(VALU_DEP_1) | instskip(NEXT) | instid1(VALU_DEP_3)
	v_add_co_ci_u32_e64 v25, s0, s5, v25, s0
	v_cmp_eq_u32_e64 s0, 0, v32
	v_add_co_u32 v22, s1, v22, s6
	s_delay_alu instid0(VALU_DEP_1) | instskip(NEXT) | instid1(VALU_DEP_3)
	v_add_co_ci_u32_e64 v23, s1, s7, v23, s1
	s_or_b32 s17, s0, s17
	s_waitcnt vmcnt(0)
	v_mul_f64 v[41:42], v[35:36], v[39:40]
	v_mul_f64 v[39:40], v[33:34], v[39:40]
	s_delay_alu instid0(VALU_DEP_2) | instskip(NEXT) | instid1(VALU_DEP_2)
	v_fma_f64 v[33:34], v[33:34], v[37:38], -v[41:42]
	v_fma_f64 v[35:36], v[35:36], v[37:38], v[39:40]
	s_delay_alu instid0(VALU_DEP_2) | instskip(NEXT) | instid1(VALU_DEP_2)
	v_add_f64 v[20:21], v[20:21], v[33:34]
	v_add_f64 v[18:19], v[18:19], v[35:36]
	s_and_not1_b32 exec_lo, exec_lo, s17
	s_cbranch_execnz .LBB8_245
; %bb.246:                              ;   in Loop: Header=BB8_243 Depth=3
	s_or_b32 exec_lo, exec_lo, s17
	s_branch .LBB8_242
.LBB8_247:                              ;   in Loop: Header=BB8_237 Depth=1
	s_or_b32 exec_lo, exec_lo, s12
	s_delay_alu instid0(SALU_CYCLE_1)
	s_mov_b32 s1, exec_lo
	v_cmpx_gt_i32_e64 s22, v10
	s_cbranch_execz .LBB8_236
; %bb.248:                              ;   in Loop: Header=BB8_237 Depth=1
	v_sub_nc_u32_e32 v18, v7, v26
	s_delay_alu instid0(VALU_DEP_1) | instskip(NEXT) | instid1(VALU_DEP_1)
	v_mul_lo_u32 v19, v18, v26
	v_cmp_gt_i32_e64 s0, v19, v8
	s_delay_alu instid0(VALU_DEP_1)
	s_and_b32 exec_lo, exec_lo, s0
	s_cbranch_execz .LBB8_236
; %bb.249:                              ;   in Loop: Header=BB8_237 Depth=1
	v_sub_nc_u32_e32 v0, 0, v18
	v_ashrrev_i32_e32 v11, 31, v10
	v_mul_lo_u32 v12, v6, s21
	v_ashrrev_i32_e32 v7, 31, v6
	v_ashrrev_i32_e32 v21, 31, v18
	v_max_i32_e32 v20, v18, v0
	v_lshlrev_b64 v[10:11], 4, v[10:11]
	v_mov_b32_e32 v28, v8
	v_lshlrev_b64 v[14:15], 4, v[6:7]
	s_mov_b32 s12, 0
	v_cvt_f32_u32_e32 v0, v20
	v_sub_nc_u32_e32 v13, 0, v20
	v_add_co_u32 v7, s0, s20, v10
	s_delay_alu instid0(VALU_DEP_1) | instskip(NEXT) | instid1(VALU_DEP_4)
	v_add_co_ci_u32_e64 v22, s0, s33, v11, s0
	v_rcp_iflag_f32_e32 v0, v0
	v_add_co_u32 v23, s0, s8, v14
	s_delay_alu instid0(VALU_DEP_1) | instskip(SKIP_2) | instid1(VALU_DEP_1)
	v_add_co_ci_u32_e64 v24, s0, s9, v15, s0
	s_waitcnt_depctr 0xfff
	v_mul_f32_e32 v0, 0x4f7ffffe, v0
	v_cvt_u32_f32_e32 v0, v0
	s_delay_alu instid0(VALU_DEP_1) | instskip(SKIP_1) | instid1(VALU_DEP_1)
	v_mul_lo_u32 v16, v13, v0
	v_ashrrev_i32_e32 v13, 31, v12
	v_lshlrev_b64 v[10:11], 4, v[12:13]
	s_delay_alu instid0(VALU_DEP_3) | instskip(NEXT) | instid1(VALU_DEP_2)
	v_mul_hi_u32 v12, v0, v16
	v_add_co_u32 v25, s0, v7, v10
	s_delay_alu instid0(VALU_DEP_1) | instskip(NEXT) | instid1(VALU_DEP_3)
	v_add_co_ci_u32_e64 v26, s0, v22, v11, s0
	v_add_nc_u32_e32 v27, v0, v12
	s_branch .LBB8_251
.LBB8_250:                              ;   in Loop: Header=BB8_251 Depth=2
	s_or_b32 exec_lo, exec_lo, s13
	s_delay_alu instid0(VALU_DEP_1) | instskip(NEXT) | instid1(VALU_DEP_2)
	v_mad_u64_u32 v[14:15], null, v29, s21, v[0:1]
	v_fma_f64 v[34:35], 0x80000000, v[10:11], -v[12:13]
	v_fma_f64 v[12:13], v[12:13], 0, -v[10:11]
	v_add_nc_u32_e32 v28, 0x100, v28
	s_delay_alu instid0(VALU_DEP_4) | instskip(NEXT) | instid1(VALU_DEP_1)
	v_ashrrev_i32_e32 v15, 31, v14
	v_lshlrev_b64 v[14:15], 4, v[14:15]
	s_delay_alu instid0(VALU_DEP_1) | instskip(NEXT) | instid1(VALU_DEP_1)
	v_add_co_u32 v32, s0, v25, v14
	v_add_co_ci_u32_e64 v33, s0, v26, v15, s0
	v_cmp_ge_i32_e64 s0, v28, v19
	global_load_b128 v[14:17], v[32:33], off
	s_or_b32 s12, s0, s12
	s_waitcnt vmcnt(0)
	v_fma_f64 v[10:11], 0x80000000, v[16:17], v[14:15]
	v_fma_f64 v[14:15], v[14:15], 0, v[16:17]
	s_delay_alu instid0(VALU_DEP_2) | instskip(NEXT) | instid1(VALU_DEP_2)
	v_add_f64 v[10:11], v[34:35], v[10:11]
	v_add_f64 v[12:13], v[12:13], v[14:15]
	global_store_b128 v[32:33], v[10:13], off
	s_and_not1_b32 exec_lo, exec_lo, s12
	s_cbranch_execz .LBB8_236
.LBB8_251:                              ;   Parent Loop BB8_237 Depth=1
                                        ; =>  This Loop Header: Depth=2
                                        ;       Child Loop BB8_253 Depth 3
	s_delay_alu instid0(VALU_DEP_1) | instskip(NEXT) | instid1(VALU_DEP_1)
	v_mul_hi_u32 v0, v28, v27
	v_mul_lo_u32 v10, v0, v20
	v_add_nc_u32_e32 v11, 1, v0
	s_delay_alu instid0(VALU_DEP_2) | instskip(NEXT) | instid1(VALU_DEP_1)
	v_sub_nc_u32_e32 v10, v28, v10
	v_sub_nc_u32_e32 v12, v10, v20
	v_cmp_ge_u32_e64 s0, v10, v20
	s_delay_alu instid0(VALU_DEP_1) | instskip(NEXT) | instid1(VALU_DEP_3)
	v_cndmask_b32_e64 v0, v0, v11, s0
	v_cndmask_b32_e64 v10, v10, v12, s0
	s_delay_alu instid0(VALU_DEP_2) | instskip(NEXT) | instid1(VALU_DEP_2)
	v_add_nc_u32_e32 v11, 1, v0
	v_cmp_ge_u32_e64 s0, v10, v20
	s_delay_alu instid0(VALU_DEP_1) | instskip(SKIP_2) | instid1(VALU_DEP_3)
	v_cndmask_b32_e64 v0, v0, v11, s0
	v_mov_b32_e32 v10, 0
	v_mov_b32_e32 v11, 0
	v_xor_b32_e32 v0, v0, v21
	s_delay_alu instid0(VALU_DEP_2) | instskip(NEXT) | instid1(VALU_DEP_2)
	v_dual_mov_b32 v13, v11 :: v_dual_mov_b32 v12, v10
	v_sub_nc_u32_e32 v29, v0, v21
	s_delay_alu instid0(VALU_DEP_1) | instskip(NEXT) | instid1(VALU_DEP_1)
	v_mul_lo_u32 v0, v29, v18
	v_sub_nc_u32_e32 v0, v28, v0
	s_and_saveexec_b32 s13, vcc_lo
	s_cbranch_execz .LBB8_250
; %bb.252:                              ;   in Loop: Header=BB8_251 Depth=2
	v_mov_b32_e32 v10, 0
	s_delay_alu instid0(VALU_DEP_2) | instskip(SKIP_3) | instid1(VALU_DEP_3)
	v_dual_mov_b32 v11, 0 :: v_dual_mov_b32 v14, v0
	v_mov_b32_e32 v16, v29
	v_mov_b32_e32 v32, v9
	s_mov_b32 s14, 0
	v_dual_mov_b32 v13, v11 :: v_dual_mov_b32 v12, v10
	s_set_inst_prefetch_distance 0x1
	.p2align	6
.LBB8_253:                              ;   Parent Loop BB8_237 Depth=1
                                        ;     Parent Loop BB8_251 Depth=2
                                        ; =>    This Inner Loop Header: Depth=3
	v_ashrrev_i32_e32 v17, 31, v16
	v_ashrrev_i32_e32 v15, 31, v14
	v_add_nc_u32_e32 v32, -1, v32
	s_delay_alu instid0(VALU_DEP_3) | instskip(NEXT) | instid1(VALU_DEP_3)
	v_lshlrev_b64 v[33:34], 4, v[16:17]
	v_lshlrev_b64 v[35:36], 4, v[14:15]
	v_add_nc_u32_e32 v16, s22, v16
	v_add_nc_u32_e32 v14, s21, v14
	s_delay_alu instid0(VALU_DEP_4) | instskip(NEXT) | instid1(VALU_DEP_1)
	v_add_co_u32 v33, s0, v23, v33
	v_add_co_ci_u32_e64 v34, s0, v24, v34, s0
	v_add_co_u32 v37, s0, v7, v35
	s_delay_alu instid0(VALU_DEP_1)
	v_add_co_ci_u32_e64 v38, s0, v22, v36, s0
	v_cmp_eq_u32_e64 s0, 0, v32
	global_load_b128 v[33:36], v[33:34], off
	global_load_b128 v[37:40], v[37:38], off
	s_or_b32 s14, s0, s14
	s_waitcnt vmcnt(0)
	v_mul_f64 v[41:42], v[35:36], v[39:40]
	v_mul_f64 v[39:40], v[33:34], v[39:40]
	s_delay_alu instid0(VALU_DEP_2) | instskip(NEXT) | instid1(VALU_DEP_2)
	v_fma_f64 v[33:34], v[33:34], v[37:38], -v[41:42]
	v_fma_f64 v[35:36], v[35:36], v[37:38], v[39:40]
	s_delay_alu instid0(VALU_DEP_2) | instskip(NEXT) | instid1(VALU_DEP_2)
	v_add_f64 v[12:13], v[12:13], v[33:34]
	v_add_f64 v[10:11], v[10:11], v[35:36]
	s_and_not1_b32 exec_lo, exec_lo, s14
	s_cbranch_execnz .LBB8_253
; %bb.254:                              ;   in Loop: Header=BB8_251 Depth=2
	s_set_inst_prefetch_distance 0x2
	s_or_b32 exec_lo, exec_lo, s14
	s_branch .LBB8_250
.LBB8_255:
	s_or_b32 exec_lo, exec_lo, s10
	s_waitcnt lgkmcnt(0)
	s_waitcnt_vscnt null, 0x0
	s_barrier
	buffer_gl0_inv
	s_mov_b32 s0, exec_lo
	v_cmpx_lt_i32_e32 1, v9
	s_cbranch_execz .LBB8_263
; %bb.256:
	v_lshl_add_u32 v2, v31, 4, 0x2c20
	v_mov_b32_e32 v1, 0
	s_add_u32 s1, s20, -16
	s_addc_u32 s2, s33, -1
	s_lshl_b32 s3, s21, 8
	s_mov_b32 s4, 0
	s_branch .LBB8_259
.LBB8_257:                              ;   in Loop: Header=BB8_259 Depth=1
	s_set_inst_prefetch_distance 0x2
	s_waitcnt lgkmcnt(0)
	s_waitcnt_vscnt null, 0x0
	s_barrier
	buffer_gl0_inv
.LBB8_258:                              ;   in Loop: Header=BB8_259 Depth=1
	s_or_b32 exec_lo, exec_lo, s0
	v_cmp_gt_i32_e32 vcc_lo, 2, v3
	v_mov_b32_e32 v9, v3
	s_or_b32 s4, vcc_lo, s4
	s_delay_alu instid0(SALU_CYCLE_1)
	s_and_not1_b32 exec_lo, exec_lo, s4
	s_cbranch_execz .LBB8_263
.LBB8_259:                              ; =>This Loop Header: Depth=1
                                        ;     Child Loop BB8_262 Depth 2
	s_delay_alu instid0(VALU_DEP_1) | instskip(NEXT) | instid1(VALU_DEP_1)
	v_add_nc_u32_e32 v0, -1, v9
	v_lshlrev_b64 v[3:4], 2, v[0:1]
	s_delay_alu instid0(VALU_DEP_1) | instskip(NEXT) | instid1(VALU_DEP_2)
	v_add_co_u32 v3, vcc_lo, s42, v3
	v_add_co_ci_u32_e32 v4, vcc_lo, s43, v4, vcc_lo
	global_load_b32 v3, v[3:4], off
	s_waitcnt vmcnt(0)
	v_not_b32_e32 v4, v3
	v_cmp_gt_i32_e32 vcc_lo, 0, v3
	v_add_nc_u32_e32 v6, -1, v3
	s_delay_alu instid0(VALU_DEP_1) | instskip(NEXT) | instid1(VALU_DEP_1)
	v_dual_cndmask_b32 v4, v6, v4 :: v_dual_add_nc_u32 v5, -2, v9
	v_cndmask_b32_e32 v3, v0, v5, vcc_lo
	s_delay_alu instid0(VALU_DEP_2) | instskip(NEXT) | instid1(VALU_DEP_2)
	v_cmp_ne_u32_e32 vcc_lo, v4, v0
	v_cmp_ne_u32_e64 s0, 0, v3
	s_delay_alu instid0(VALU_DEP_1) | instskip(NEXT) | instid1(SALU_CYCLE_1)
	s_and_b32 s5, vcc_lo, s0
	s_and_saveexec_b32 s0, s5
	s_cbranch_execz .LBB8_258
; %bb.260:                              ;   in Loop: Header=BB8_259 Depth=1
	v_cmp_gt_i32_e32 vcc_lo, v3, v8
	s_and_b32 exec_lo, exec_lo, vcc_lo
	s_cbranch_execz .LBB8_257
; %bb.261:                              ;   in Loop: Header=BB8_259 Depth=1
	v_ashrrev_i32_e32 v0, 31, v9
	v_dual_mov_b32 v5, v30 :: v_dual_mov_b32 v6, v8
	s_mov_b32 s5, 0
	s_set_inst_prefetch_distance 0x1
	.p2align	6
.LBB8_262:                              ;   Parent Loop BB8_259 Depth=1
                                        ; =>  This Inner Loop Header: Depth=2
	s_delay_alu instid0(VALU_DEP_1) | instskip(SKIP_3) | instid1(VALU_DEP_4)
	v_add_nc_u32_e32 v10, v4, v5
	v_ashrrev_i32_e32 v7, 31, v5
	v_add_co_u32 v12, vcc_lo, v5, v9
	v_add_nc_u32_e32 v6, 0x100, v6
	v_ashrrev_i32_e32 v11, 31, v10
	s_delay_alu instid0(VALU_DEP_4) | instskip(SKIP_1) | instid1(VALU_DEP_3)
	v_add_co_ci_u32_e32 v13, vcc_lo, v7, v0, vcc_lo
	v_add_nc_u32_e32 v5, s3, v5
	v_lshlrev_b64 v[10:11], 4, v[10:11]
	s_delay_alu instid0(VALU_DEP_3) | instskip(NEXT) | instid1(VALU_DEP_2)
	v_lshlrev_b64 v[12:13], 4, v[12:13]
	v_add_co_u32 v18, vcc_lo, s20, v10
	s_delay_alu instid0(VALU_DEP_3) | instskip(NEXT) | instid1(VALU_DEP_3)
	v_add_co_ci_u32_e32 v19, vcc_lo, s33, v11, vcc_lo
	v_add_co_u32 v20, vcc_lo, s1, v12
	s_delay_alu instid0(VALU_DEP_4)
	v_add_co_ci_u32_e32 v21, vcc_lo, s2, v13, vcc_lo
	v_cmp_ge_i32_e32 vcc_lo, v6, v3
	s_clause 0x1
	global_load_b128 v[10:13], v[18:19], off
	global_load_b128 v[14:17], v[20:21], off
	s_or_b32 s5, vcc_lo, s5
	s_waitcnt vmcnt(1)
	ds_store_2addr_b64 v2, v[10:11], v[12:13] offset1:1
	s_waitcnt vmcnt(0)
	s_clause 0x1
	global_store_b128 v[18:19], v[14:17], off
	global_store_b128 v[20:21], v[10:13], off
	s_and_not1_b32 exec_lo, exec_lo, s5
	s_cbranch_execnz .LBB8_262
	s_branch .LBB8_257
.LBB8_263:
	s_endpgm
.LBB8_264:
	v_mov_b32_e32 v9, 0
	s_and_saveexec_b32 s0, s4
	s_cbranch_execnz .LBB8_233
	s_branch .LBB8_234
	.section	.rodata,"a",@progbits
	.p2align	6, 0x0
	.amdhsa_kernel _ZN9rocsolver6v33100L18lasyf_kernel_lowerI19rocblas_complex_numIdEPS3_EEviiPiT0_iilS5_lS5_PT_
		.amdhsa_group_segment_fixed_size 15392
		.amdhsa_private_segment_fixed_size 0
		.amdhsa_kernarg_size 72
		.amdhsa_user_sgpr_count 14
		.amdhsa_user_sgpr_dispatch_ptr 1
		.amdhsa_user_sgpr_queue_ptr 0
		.amdhsa_user_sgpr_kernarg_segment_ptr 1
		.amdhsa_user_sgpr_dispatch_id 0
		.amdhsa_user_sgpr_private_segment_size 0
		.amdhsa_wavefront_size32 1
		.amdhsa_uses_dynamic_stack 0
		.amdhsa_enable_private_segment 0
		.amdhsa_system_sgpr_workgroup_id_x 1
		.amdhsa_system_sgpr_workgroup_id_y 1
		.amdhsa_system_sgpr_workgroup_id_z 0
		.amdhsa_system_sgpr_workgroup_info 0
		.amdhsa_system_vgpr_workitem_id 2
		.amdhsa_next_free_vgpr 60
		.amdhsa_next_free_sgpr 66
		.amdhsa_reserve_vcc 1
		.amdhsa_float_round_mode_32 0
		.amdhsa_float_round_mode_16_64 0
		.amdhsa_float_denorm_mode_32 3
		.amdhsa_float_denorm_mode_16_64 3
		.amdhsa_dx10_clamp 1
		.amdhsa_ieee_mode 1
		.amdhsa_fp16_overflow 0
		.amdhsa_workgroup_processor_mode 1
		.amdhsa_memory_ordered 1
		.amdhsa_forward_progress 0
		.amdhsa_shared_vgpr_count 0
		.amdhsa_exception_fp_ieee_invalid_op 0
		.amdhsa_exception_fp_denorm_src 0
		.amdhsa_exception_fp_ieee_div_zero 0
		.amdhsa_exception_fp_ieee_overflow 0
		.amdhsa_exception_fp_ieee_underflow 0
		.amdhsa_exception_fp_ieee_inexact 0
		.amdhsa_exception_int_div_zero 0
	.end_amdhsa_kernel
	.section	.text._ZN9rocsolver6v33100L18lasyf_kernel_lowerI19rocblas_complex_numIdEPS3_EEviiPiT0_iilS5_lS5_PT_,"axG",@progbits,_ZN9rocsolver6v33100L18lasyf_kernel_lowerI19rocblas_complex_numIdEPS3_EEviiPiT0_iilS5_lS5_PT_,comdat
.Lfunc_end8:
	.size	_ZN9rocsolver6v33100L18lasyf_kernel_lowerI19rocblas_complex_numIdEPS3_EEviiPiT0_iilS5_lS5_PT_, .Lfunc_end8-_ZN9rocsolver6v33100L18lasyf_kernel_lowerI19rocblas_complex_numIdEPS3_EEviiPiT0_iilS5_lS5_PT_
                                        ; -- End function
	.section	.AMDGPU.csdata,"",@progbits
; Kernel info:
; codeLenInByte = 14728
; NumSgprs: 68
; NumVgprs: 60
; ScratchSize: 0
; MemoryBound: 0
; FloatMode: 240
; IeeeMode: 1
; LDSByteSize: 15392 bytes/workgroup (compile time only)
; SGPRBlocks: 8
; VGPRBlocks: 7
; NumSGPRsForWavesPerEU: 68
; NumVGPRsForWavesPerEU: 60
; Occupancy: 16
; WaveLimiterHint : 1
; COMPUTE_PGM_RSRC2:SCRATCH_EN: 0
; COMPUTE_PGM_RSRC2:USER_SGPR: 14
; COMPUTE_PGM_RSRC2:TRAP_HANDLER: 0
; COMPUTE_PGM_RSRC2:TGID_X_EN: 1
; COMPUTE_PGM_RSRC2:TGID_Y_EN: 1
; COMPUTE_PGM_RSRC2:TGID_Z_EN: 0
; COMPUTE_PGM_RSRC2:TIDIG_COMP_CNT: 2
	.text
	.p2alignl 7, 3214868480
	.fill 96, 4, 3214868480
	.type	__hip_cuid_900b63ee94c879cb,@object ; @__hip_cuid_900b63ee94c879cb
	.section	.bss,"aw",@nobits
	.globl	__hip_cuid_900b63ee94c879cb
__hip_cuid_900b63ee94c879cb:
	.byte	0                               ; 0x0
	.size	__hip_cuid_900b63ee94c879cb, 1

	.ident	"AMD clang version 19.0.0git (https://github.com/RadeonOpenCompute/llvm-project roc-6.4.0 25133 c7fe45cf4b819c5991fe208aaa96edf142730f1d)"
	.section	".note.GNU-stack","",@progbits
	.addrsig
	.addrsig_sym __hip_cuid_900b63ee94c879cb
	.amdgpu_metadata
---
amdhsa.kernels:
  - .args:
      - .address_space:  global
        .offset:         0
        .size:           8
        .value_kind:     global_buffer
      - .offset:         8
        .size:           4
        .value_kind:     by_value
      - .offset:         12
        .size:           4
        .value_kind:     by_value
      - .offset:         16
        .size:           4
        .value_kind:     by_value
      - .offset:         24
        .size:           4
        .value_kind:     hidden_block_count_x
      - .offset:         28
        .size:           4
        .value_kind:     hidden_block_count_y
      - .offset:         32
        .size:           4
        .value_kind:     hidden_block_count_z
      - .offset:         36
        .size:           2
        .value_kind:     hidden_group_size_x
      - .offset:         38
        .size:           2
        .value_kind:     hidden_group_size_y
      - .offset:         40
        .size:           2
        .value_kind:     hidden_group_size_z
      - .offset:         42
        .size:           2
        .value_kind:     hidden_remainder_x
      - .offset:         44
        .size:           2
        .value_kind:     hidden_remainder_y
      - .offset:         46
        .size:           2
        .value_kind:     hidden_remainder_z
      - .offset:         64
        .size:           8
        .value_kind:     hidden_global_offset_x
      - .offset:         72
        .size:           8
        .value_kind:     hidden_global_offset_y
      - .offset:         80
        .size:           8
        .value_kind:     hidden_global_offset_z
      - .offset:         88
        .size:           2
        .value_kind:     hidden_grid_dims
    .group_segment_fixed_size: 0
    .kernarg_segment_align: 8
    .kernarg_segment_size: 280
    .language:       OpenCL C
    .language_version:
      - 2
      - 0
    .max_flat_workgroup_size: 1024
    .name:           _ZN9rocsolver6v33100L10reset_infoIiiiEEvPT_T0_T1_S4_
    .private_segment_fixed_size: 0
    .sgpr_count:     18
    .sgpr_spill_count: 0
    .symbol:         _ZN9rocsolver6v33100L10reset_infoIiiiEEvPT_T0_T1_S4_.kd
    .uniform_work_group_size: 1
    .uses_dynamic_stack: false
    .vgpr_count:     6
    .vgpr_spill_count: 0
    .wavefront_size: 32
    .workgroup_processor_mode: 1
  - .args:
      - .offset:         0
        .size:           4
        .value_kind:     by_value
      - .offset:         4
        .size:           4
        .value_kind:     by_value
      - .address_space:  global
        .offset:         8
        .size:           8
        .value_kind:     global_buffer
      - .address_space:  global
        .offset:         16
        .size:           8
        .value_kind:     global_buffer
      - .offset:         24
        .size:           4
        .value_kind:     by_value
      - .offset:         28
        .size:           4
        .value_kind:     by_value
      - .offset:         32
        .size:           8
        .value_kind:     by_value
      - .address_space:  global
        .offset:         40
        .size:           8
        .value_kind:     global_buffer
      - .offset:         48
        .size:           8
        .value_kind:     by_value
      - .address_space:  global
        .offset:         56
        .size:           8
        .value_kind:     global_buffer
      - .address_space:  global
        .offset:         64
        .size:           8
        .value_kind:     global_buffer
    .group_segment_fixed_size: 2068
    .kernarg_segment_align: 8
    .kernarg_segment_size: 72
    .language:       OpenCL C
    .language_version:
      - 2
      - 0
    .max_flat_workgroup_size: 256
    .name:           _ZN9rocsolver6v33100L18lasyf_kernel_upperIfPfEEviiPiT0_iilS3_lS3_PT_
    .private_segment_fixed_size: 0
    .sgpr_count:     74
    .sgpr_spill_count: 0
    .symbol:         _ZN9rocsolver6v33100L18lasyf_kernel_upperIfPfEEviiPiT0_iilS3_lS3_PT_.kd
    .uniform_work_group_size: 1
    .uses_dynamic_stack: false
    .vgpr_count:     31
    .vgpr_spill_count: 0
    .wavefront_size: 32
    .workgroup_processor_mode: 1
  - .args:
      - .offset:         0
        .size:           4
        .value_kind:     by_value
      - .offset:         4
        .size:           4
        .value_kind:     by_value
      - .address_space:  global
        .offset:         8
        .size:           8
        .value_kind:     global_buffer
      - .address_space:  global
        .offset:         16
        .size:           8
        .value_kind:     global_buffer
      - .offset:         24
        .size:           4
        .value_kind:     by_value
      - .offset:         28
        .size:           4
        .value_kind:     by_value
      - .offset:         32
        .size:           8
        .value_kind:     by_value
      - .address_space:  global
        .offset:         40
        .size:           8
        .value_kind:     global_buffer
      - .offset:         48
        .size:           8
        .value_kind:     by_value
      - .address_space:  global
        .offset:         56
        .size:           8
        .value_kind:     global_buffer
      - .address_space:  global
        .offset:         64
        .size:           8
        .value_kind:     global_buffer
    .group_segment_fixed_size: 2068
    .kernarg_segment_align: 8
    .kernarg_segment_size: 72
    .language:       OpenCL C
    .language_version:
      - 2
      - 0
    .max_flat_workgroup_size: 256
    .name:           _ZN9rocsolver6v33100L18lasyf_kernel_lowerIfPfEEviiPiT0_iilS3_lS3_PT_
    .private_segment_fixed_size: 0
    .sgpr_count:     62
    .sgpr_spill_count: 0
    .symbol:         _ZN9rocsolver6v33100L18lasyf_kernel_lowerIfPfEEviiPiT0_iilS3_lS3_PT_.kd
    .uniform_work_group_size: 1
    .uses_dynamic_stack: false
    .vgpr_count:     42
    .vgpr_spill_count: 0
    .wavefront_size: 32
    .workgroup_processor_mode: 1
  - .args:
      - .offset:         0
        .size:           4
        .value_kind:     by_value
      - .offset:         4
        .size:           4
        .value_kind:     by_value
      - .address_space:  global
        .offset:         8
        .size:           8
        .value_kind:     global_buffer
      - .address_space:  global
        .offset:         16
        .size:           8
        .value_kind:     global_buffer
      - .offset:         24
        .size:           4
        .value_kind:     by_value
      - .offset:         28
        .size:           4
        .value_kind:     by_value
      - .offset:         32
        .size:           8
        .value_kind:     by_value
      - .address_space:  global
        .offset:         40
        .size:           8
        .value_kind:     global_buffer
      - .offset:         48
        .size:           8
        .value_kind:     by_value
      - .address_space:  global
        .offset:         56
        .size:           8
        .value_kind:     global_buffer
      - .address_space:  global
        .offset:         64
        .size:           8
        .value_kind:     global_buffer
    .group_segment_fixed_size: 3104
    .kernarg_segment_align: 8
    .kernarg_segment_size: 72
    .language:       OpenCL C
    .language_version:
      - 2
      - 0
    .max_flat_workgroup_size: 256
    .name:           _ZN9rocsolver6v33100L18lasyf_kernel_upperIdPdEEviiPiT0_iilS3_lS3_PT_
    .private_segment_fixed_size: 0
    .sgpr_count:     76
    .sgpr_spill_count: 0
    .symbol:         _ZN9rocsolver6v33100L18lasyf_kernel_upperIdPdEEviiPiT0_iilS3_lS3_PT_.kd
    .uniform_work_group_size: 1
    .uses_dynamic_stack: false
    .vgpr_count:     34
    .vgpr_spill_count: 0
    .wavefront_size: 32
    .workgroup_processor_mode: 1
  - .args:
      - .offset:         0
        .size:           4
        .value_kind:     by_value
      - .offset:         4
        .size:           4
        .value_kind:     by_value
      - .address_space:  global
        .offset:         8
        .size:           8
        .value_kind:     global_buffer
      - .address_space:  global
        .offset:         16
        .size:           8
        .value_kind:     global_buffer
      - .offset:         24
        .size:           4
        .value_kind:     by_value
      - .offset:         28
        .size:           4
        .value_kind:     by_value
      - .offset:         32
        .size:           8
        .value_kind:     by_value
      - .address_space:  global
        .offset:         40
        .size:           8
        .value_kind:     global_buffer
      - .offset:         48
        .size:           8
        .value_kind:     by_value
      - .address_space:  global
        .offset:         56
        .size:           8
        .value_kind:     global_buffer
      - .address_space:  global
        .offset:         64
        .size:           8
        .value_kind:     global_buffer
    .group_segment_fixed_size: 3104
    .kernarg_segment_align: 8
    .kernarg_segment_size: 72
    .language:       OpenCL C
    .language_version:
      - 2
      - 0
    .max_flat_workgroup_size: 256
    .name:           _ZN9rocsolver6v33100L18lasyf_kernel_lowerIdPdEEviiPiT0_iilS3_lS3_PT_
    .private_segment_fixed_size: 0
    .sgpr_count:     64
    .sgpr_spill_count: 0
    .symbol:         _ZN9rocsolver6v33100L18lasyf_kernel_lowerIdPdEEviiPiT0_iilS3_lS3_PT_.kd
    .uniform_work_group_size: 1
    .uses_dynamic_stack: false
    .vgpr_count:     50
    .vgpr_spill_count: 0
    .wavefront_size: 32
    .workgroup_processor_mode: 1
  - .args:
      - .offset:         0
        .size:           4
        .value_kind:     by_value
      - .offset:         4
        .size:           4
        .value_kind:     by_value
      - .address_space:  global
        .offset:         8
        .size:           8
        .value_kind:     global_buffer
      - .address_space:  global
        .offset:         16
        .size:           8
        .value_kind:     global_buffer
      - .offset:         24
        .size:           4
        .value_kind:     by_value
      - .offset:         28
        .size:           4
        .value_kind:     by_value
      - .offset:         32
        .size:           8
        .value_kind:     by_value
      - .address_space:  global
        .offset:         40
        .size:           8
        .value_kind:     global_buffer
      - .offset:         48
        .size:           8
        .value_kind:     by_value
      - .address_space:  global
        .offset:         56
        .size:           8
        .value_kind:     global_buffer
      - .address_space:  global
        .offset:         64
        .size:           8
        .value_kind:     global_buffer
    .group_segment_fixed_size: 2068
    .kernarg_segment_align: 8
    .kernarg_segment_size: 72
    .language:       OpenCL C
    .language_version:
      - 2
      - 0
    .max_flat_workgroup_size: 256
    .name:           _ZN9rocsolver6v33100L18lasyf_kernel_upperI19rocblas_complex_numIfEPS3_EEviiPiT0_iilS5_lS5_PT_
    .private_segment_fixed_size: 0
    .sgpr_count:     80
    .sgpr_spill_count: 0
    .symbol:         _ZN9rocsolver6v33100L18lasyf_kernel_upperI19rocblas_complex_numIfEPS3_EEviiPiT0_iilS5_lS5_PT_.kd
    .uniform_work_group_size: 1
    .uses_dynamic_stack: false
    .vgpr_count:     33
    .vgpr_spill_count: 0
    .wavefront_size: 32
    .workgroup_processor_mode: 1
  - .args:
      - .offset:         0
        .size:           4
        .value_kind:     by_value
      - .offset:         4
        .size:           4
        .value_kind:     by_value
      - .address_space:  global
        .offset:         8
        .size:           8
        .value_kind:     global_buffer
      - .address_space:  global
        .offset:         16
        .size:           8
        .value_kind:     global_buffer
      - .offset:         24
        .size:           4
        .value_kind:     by_value
      - .offset:         28
        .size:           4
        .value_kind:     by_value
      - .offset:         32
        .size:           8
        .value_kind:     by_value
      - .address_space:  global
        .offset:         40
        .size:           8
        .value_kind:     global_buffer
      - .offset:         48
        .size:           8
        .value_kind:     by_value
      - .address_space:  global
        .offset:         56
        .size:           8
        .value_kind:     global_buffer
      - .address_space:  global
        .offset:         64
        .size:           8
        .value_kind:     global_buffer
    .group_segment_fixed_size: 2068
    .kernarg_segment_align: 8
    .kernarg_segment_size: 72
    .language:       OpenCL C
    .language_version:
      - 2
      - 0
    .max_flat_workgroup_size: 256
    .name:           _ZN9rocsolver6v33100L18lasyf_kernel_lowerI19rocblas_complex_numIfEPS3_EEviiPiT0_iilS5_lS5_PT_
    .private_segment_fixed_size: 0
    .sgpr_count:     66
    .sgpr_spill_count: 0
    .symbol:         _ZN9rocsolver6v33100L18lasyf_kernel_lowerI19rocblas_complex_numIfEPS3_EEviiPiT0_iilS5_lS5_PT_.kd
    .uniform_work_group_size: 1
    .uses_dynamic_stack: false
    .vgpr_count:     48
    .vgpr_spill_count: 0
    .wavefront_size: 32
    .workgroup_processor_mode: 1
  - .args:
      - .offset:         0
        .size:           4
        .value_kind:     by_value
      - .offset:         4
        .size:           4
        .value_kind:     by_value
      - .address_space:  global
        .offset:         8
        .size:           8
        .value_kind:     global_buffer
      - .address_space:  global
        .offset:         16
        .size:           8
        .value_kind:     global_buffer
      - .offset:         24
        .size:           4
        .value_kind:     by_value
      - .offset:         28
        .size:           4
        .value_kind:     by_value
      - .offset:         32
        .size:           8
        .value_kind:     by_value
      - .address_space:  global
        .offset:         40
        .size:           8
        .value_kind:     global_buffer
      - .offset:         48
        .size:           8
        .value_kind:     by_value
      - .address_space:  global
        .offset:         56
        .size:           8
        .value_kind:     global_buffer
      - .address_space:  global
        .offset:         64
        .size:           8
        .value_kind:     global_buffer
    .group_segment_fixed_size: 15392
    .kernarg_segment_align: 8
    .kernarg_segment_size: 72
    .language:       OpenCL C
    .language_version:
      - 2
      - 0
    .max_flat_workgroup_size: 256
    .name:           _ZN9rocsolver6v33100L18lasyf_kernel_upperI19rocblas_complex_numIdEPS3_EEviiPiT0_iilS5_lS5_PT_
    .private_segment_fixed_size: 0
    .sgpr_count:     84
    .sgpr_spill_count: 0
    .symbol:         _ZN9rocsolver6v33100L18lasyf_kernel_upperI19rocblas_complex_numIdEPS3_EEviiPiT0_iilS5_lS5_PT_.kd
    .uniform_work_group_size: 1
    .uses_dynamic_stack: false
    .vgpr_count:     45
    .vgpr_spill_count: 0
    .wavefront_size: 32
    .workgroup_processor_mode: 1
  - .args:
      - .offset:         0
        .size:           4
        .value_kind:     by_value
      - .offset:         4
        .size:           4
        .value_kind:     by_value
      - .address_space:  global
        .offset:         8
        .size:           8
        .value_kind:     global_buffer
      - .address_space:  global
        .offset:         16
        .size:           8
        .value_kind:     global_buffer
      - .offset:         24
        .size:           4
        .value_kind:     by_value
      - .offset:         28
        .size:           4
        .value_kind:     by_value
      - .offset:         32
        .size:           8
        .value_kind:     by_value
      - .address_space:  global
        .offset:         40
        .size:           8
        .value_kind:     global_buffer
      - .offset:         48
        .size:           8
        .value_kind:     by_value
      - .address_space:  global
        .offset:         56
        .size:           8
        .value_kind:     global_buffer
      - .address_space:  global
        .offset:         64
        .size:           8
        .value_kind:     global_buffer
    .group_segment_fixed_size: 15392
    .kernarg_segment_align: 8
    .kernarg_segment_size: 72
    .language:       OpenCL C
    .language_version:
      - 2
      - 0
    .max_flat_workgroup_size: 256
    .name:           _ZN9rocsolver6v33100L18lasyf_kernel_lowerI19rocblas_complex_numIdEPS3_EEviiPiT0_iilS5_lS5_PT_
    .private_segment_fixed_size: 0
    .sgpr_count:     68
    .sgpr_spill_count: 0
    .symbol:         _ZN9rocsolver6v33100L18lasyf_kernel_lowerI19rocblas_complex_numIdEPS3_EEviiPiT0_iilS5_lS5_PT_.kd
    .uniform_work_group_size: 1
    .uses_dynamic_stack: false
    .vgpr_count:     60
    .vgpr_spill_count: 0
    .wavefront_size: 32
    .workgroup_processor_mode: 1
amdhsa.target:   amdgcn-amd-amdhsa--gfx1100
amdhsa.version:
  - 1
  - 2
...

	.end_amdgpu_metadata
